;; amdgpu-corpus repo=ROCm/rocFFT kind=compiled arch=gfx90a opt=O3
	.text
	.amdgcn_target "amdgcn-amd-amdhsa--gfx90a"
	.amdhsa_code_object_version 6
	.protected	bluestein_single_fwd_len1156_dim1_dp_op_CI_CI ; -- Begin function bluestein_single_fwd_len1156_dim1_dp_op_CI_CI
	.globl	bluestein_single_fwd_len1156_dim1_dp_op_CI_CI
	.p2align	8
	.type	bluestein_single_fwd_len1156_dim1_dp_op_CI_CI,@function
bluestein_single_fwd_len1156_dim1_dp_op_CI_CI: ; @bluestein_single_fwd_len1156_dim1_dp_op_CI_CI
; %bb.0:
	s_load_dwordx4 s[16:19], s[4:5], 0x28
	v_mul_u32_u24_e32 v1, 0x3c4, v0
	v_lshrrev_b32_e32 v2, 16, v1
	v_mad_u64_u32 v[8:9], s[0:1], s6, 3, v[2:3]
	v_mov_b32_e32 v9, 0
	s_waitcnt lgkmcnt(0)
	v_cmp_gt_u64_e32 vcc, s[16:17], v[8:9]
	s_and_saveexec_b64 s[0:1], vcc
	s_cbranch_execz .LBB0_18
; %bb.1:
	s_load_dwordx4 s[12:15], s[4:5], 0x18
	v_mul_lo_u16_e32 v1, 0x44, v2
	v_sub_u16_e32 v20, v0, v1
	v_lshlrev_b32_e32 v25, 4, v20
	v_mov_b32_e32 v12, 0x440
	s_waitcnt lgkmcnt(0)
	s_load_dwordx4 s[0:3], s[12:13], 0x0
	s_load_dwordx4 s[8:11], s[4:5], 0x0
	s_movk_i32 s16, 0x1000
	s_load_dwordx2 s[12:13], s[4:5], 0x38
	v_accvgpr_write_b32 a0, v8
	s_waitcnt lgkmcnt(0)
	v_mad_u64_u32 v[0:1], s[6:7], s2, v8, 0
	v_mov_b32_e32 v4, v1
	v_mad_u64_u32 v[2:3], s[6:7], s0, v20, 0
	v_mad_u64_u32 v[4:5], s[2:3], s3, v8, v[4:5]
	v_mov_b32_e32 v6, v3
	v_mov_b32_e32 v1, v4
	v_mad_u64_u32 v[4:5], s[2:3], s1, v20, v[6:7]
	v_lshlrev_b64 v[0:1], 4, v[0:1]
	v_mov_b32_e32 v3, v4
	v_mov_b32_e32 v4, s19
	v_add_co_u32_e32 v5, vcc, s18, v0
	s_mov_b32 s2, 0xaaaaaaab
	v_addc_co_u32_e32 v4, vcc, v4, v1, vcc
	v_lshlrev_b64 v[0:1], 4, v[2:3]
	v_mul_hi_u32 v2, v8, s2
	v_lshrrev_b32_e32 v2, 1, v2
	v_lshl_add_u32 v2, v2, 1, v2
	v_add_co_u32_e32 v0, vcc, v5, v0
	v_sub_u32_e32 v2, v8, v2
	v_mov_b32_e32 v3, s9
	v_add_co_u32_e64 v254, s[2:3], s8, v25
	v_addc_co_u32_e32 v1, vcc, v4, v1, vcc
	v_mul_u32_u24_e32 v2, 0x484, v2
	v_addc_co_u32_e64 v21, vcc, 0, v3, s[2:3]
	global_load_dwordx4 v[68:71], v[0:1], off
	s_load_dwordx4 s[4:7], s[14:15], 0x0
	v_lshlrev_b32_e32 v23, 4, v2
	v_add_co_u32_e32 v2, vcc, s16, v254
	s_mulk_i32 s1, 0x440
	v_mad_u64_u32 v[0:1], s[14:15], s0, v12, v[0:1]
	v_addc_co_u32_e32 v3, vcc, 0, v21, vcc
	v_add_u32_e32 v1, s1, v1
	global_load_dwordx4 v[26:29], v25, s[8:9]
	global_load_dwordx4 v[148:151], v25, s[8:9] offset:1088
	global_load_dwordx4 v[144:147], v25, s[8:9] offset:2176
	;; [unrolled: 1-line block ×3, first 2 shown]
	global_load_dwordx4 v[136:139], v[2:3], off offset:256
	global_load_dwordx4 v[132:135], v[2:3], off offset:1344
	;; [unrolled: 1-line block ×4, first 2 shown]
	v_mad_u64_u32 v[2:3], s[14:15], s0, v12, v[0:1]
	v_add_u32_e32 v3, s1, v3
	global_load_dwordx4 v[88:91], v[0:1], off
	global_load_dwordx4 v[80:83], v[2:3], off
	v_mad_u64_u32 v[0:1], s[14:15], s0, v12, v[2:3]
	v_add_u32_e32 v1, s1, v1
	v_mad_u64_u32 v[2:3], s[14:15], s0, v12, v[0:1]
	v_add_u32_e32 v3, s1, v3
	global_load_dwordx4 v[84:87], v[0:1], off
	global_load_dwordx4 v[76:79], v[2:3], off
	v_mad_u64_u32 v[0:1], s[14:15], s0, v12, v[2:3]
	v_add_u32_e32 v1, s1, v1
	global_load_dwordx4 v[72:75], v[0:1], off
	v_mad_u64_u32 v[0:1], s[14:15], s0, v12, v[0:1]
	v_add_u32_e32 v1, s1, v1
	;; [unrolled: 3-line block ×3, first 2 shown]
	v_mad_u64_u32 v[18:19], s[14:15], s0, v12, v[0:1]
	v_add_u32_e32 v19, s1, v19
	s_movk_i32 s17, 0x2000
	global_load_dwordx4 v[4:7], v[0:1], off
	v_add_co_u32_e32 v16, vcc, s17, v254
	global_load_dwordx4 v[0:3], v[18:19], off
	v_mad_u64_u32 v[18:19], s[14:15], s0, v12, v[18:19]
	v_add_u32_e32 v19, s1, v19
	v_addc_co_u32_e32 v17, vcc, 0, v21, vcc
	global_load_dwordx4 v[92:95], v[18:19], off
	global_load_dwordx4 v[62:65], v[16:17], off offset:512
	global_load_dwordx4 v[38:41], v[16:17], off offset:1600
	v_mad_u64_u32 v[18:19], s[14:15], s0, v12, v[18:19]
	v_add_u32_e32 v19, s1, v19
	global_load_dwordx4 v[96:99], v[18:19], off
	v_mad_u64_u32 v[18:19], s[14:15], s0, v12, v[18:19]
	v_add_u32_e32 v19, s1, v19
	global_load_dwordx4 v[100:103], v[18:19], off
	global_load_dwordx4 v[58:61], v[16:17], off offset:2688
	global_load_dwordx4 v[34:37], v[16:17], off offset:3776
	v_mad_u64_u32 v[16:17], s[14:15], s0, v12, v[18:19]
	v_add_u32_e32 v17, s1, v17
	global_load_dwordx4 v[104:107], v[16:17], off
	s_movk_i32 s8, 0x3000
	v_mad_u64_u32 v[16:17], s[14:15], s0, v12, v[16:17]
	v_add_co_u32_e32 v18, vcc, s8, v254
	v_add_u32_e32 v17, s1, v17
	v_addc_co_u32_e32 v19, vcc, 0, v21, vcc
	global_load_dwordx4 v[108:111], v[16:17], off
	global_load_dwordx4 v[128:131], v[18:19], off offset:768
	global_load_dwordx4 v[46:49], v[18:19], off offset:1856
	v_mad_u64_u32 v[16:17], s[14:15], s0, v12, v[16:17]
	v_add_u32_e32 v17, s1, v17
	global_load_dwordx4 v[112:115], v[16:17], off
	v_mad_u64_u32 v[16:17], s[14:15], s0, v12, v[16:17]
	v_add_u32_e32 v17, s1, v17
	v_mad_u64_u32 v[12:13], s[14:15], s0, v12, v[16:17]
	global_load_dwordx4 v[116:119], v[16:17], off
	global_load_dwordx4 v[124:127], v[18:19], off offset:2944
	global_load_dwordx4 v[42:45], v[18:19], off offset:4032
	v_add_u32_e32 v13, s1, v13
	s_movk_i32 s0, 0x4000
	global_load_dwordx4 v[120:123], v[12:13], off
	v_add_co_u32_e32 v12, vcc, s0, v254
	v_addc_co_u32_e32 v13, vcc, 0, v21, vcc
	global_load_dwordx4 v[50:53], v[12:13], off offset:1024
	v_add_u32_e32 v21, v25, v23
	s_mov_b32 s28, 0x5d8e7cdc
	s_waitcnt vmcnt(32)
	v_mul_f64 v[14:15], v[70:71], v[28:29]
	v_mul_f64 v[12:13], v[68:69], v[28:29]
	v_fmac_f64_e32 v[14:15], v[68:69], v[26:27]
	v_fma_f64 v[16:17], v[70:71], v[26:27], -v[12:13]
	ds_write_b128 v21, v[14:17]
	s_waitcnt vmcnt(24)
	v_mul_f64 v[12:13], v[90:91], v[150:151]
	v_mul_f64 v[14:15], v[88:89], v[150:151]
	v_fmac_f64_e32 v[12:13], v[88:89], v[148:149]
	v_fma_f64 v[14:15], v[90:91], v[148:149], -v[14:15]
	ds_write_b128 v21, v[12:15] offset:1088
	s_waitcnt vmcnt(23)
	v_mul_f64 v[12:13], v[82:83], v[146:147]
	v_mul_f64 v[14:15], v[80:81], v[146:147]
	v_fmac_f64_e32 v[12:13], v[80:81], v[144:145]
	v_fma_f64 v[14:15], v[82:83], v[144:145], -v[14:15]
	ds_write_b128 v21, v[12:15] offset:2176
	s_waitcnt vmcnt(22)
	v_mul_f64 v[12:13], v[86:87], v[142:143]
	v_mul_f64 v[14:15], v[84:85], v[142:143]
	v_fmac_f64_e32 v[12:13], v[84:85], v[140:141]
	v_fma_f64 v[14:15], v[86:87], v[140:141], -v[14:15]
	ds_write_b128 v21, v[12:15] offset:3264
	s_waitcnt vmcnt(21)
	v_mul_f64 v[12:13], v[78:79], v[138:139]
	v_mul_f64 v[14:15], v[76:77], v[138:139]
	v_fmac_f64_e32 v[12:13], v[76:77], v[136:137]
	v_fma_f64 v[14:15], v[78:79], v[136:137], -v[14:15]
	ds_write_b128 v21, v[12:15] offset:4352
	s_waitcnt vmcnt(20)
	v_mul_f64 v[12:13], v[74:75], v[134:135]
	v_mul_f64 v[14:15], v[72:73], v[134:135]
	v_fmac_f64_e32 v[12:13], v[72:73], v[132:133]
	v_fma_f64 v[14:15], v[74:75], v[132:133], -v[14:15]
	ds_write_b128 v21, v[12:15] offset:5440
	s_waitcnt vmcnt(19)
	v_mul_f64 v[12:13], v[10:11], v[56:57]
	v_fmac_f64_e32 v[12:13], v[8:9], v[54:55]
	v_mul_f64 v[8:9], v[8:9], v[56:57]
	v_fma_f64 v[14:15], v[10:11], v[54:55], -v[8:9]
	s_waitcnt vmcnt(18)
	v_mul_f64 v[8:9], v[6:7], v[32:33]
	v_fmac_f64_e32 v[8:9], v[4:5], v[30:31]
	v_mul_f64 v[4:5], v[4:5], v[32:33]
	v_fma_f64 v[10:11], v[6:7], v[30:31], -v[4:5]
	;; [unrolled: 5-line block ×3, first 2 shown]
	s_waitcnt vmcnt(14)
	v_mul_f64 v[0:1], v[94:95], v[40:41]
	v_mul_f64 v[2:3], v[92:93], v[40:41]
	v_fmac_f64_e32 v[0:1], v[92:93], v[38:39]
	v_fma_f64 v[2:3], v[94:95], v[38:39], -v[2:3]
	ds_write_b128 v21, v[0:3] offset:9792
	s_waitcnt vmcnt(11)
	v_mul_f64 v[0:1], v[98:99], v[60:61]
	v_mul_f64 v[2:3], v[96:97], v[60:61]
	v_fmac_f64_e32 v[0:1], v[96:97], v[58:59]
	v_fma_f64 v[2:3], v[98:99], v[58:59], -v[2:3]
	ds_write_b128 v21, v[0:3] offset:10880
	;; [unrolled: 6-line block ×3, first 2 shown]
	v_accvgpr_write_b32 a2, v26
	s_waitcnt vmcnt(7)
	v_mul_f64 v[0:1], v[106:107], v[130:131]
	v_mul_f64 v[2:3], v[104:105], v[130:131]
	v_fmac_f64_e32 v[0:1], v[104:105], v[128:129]
	v_fma_f64 v[2:3], v[106:107], v[128:129], -v[2:3]
	ds_write_b128 v21, v[0:3] offset:13056
	s_waitcnt vmcnt(6)
	v_mul_f64 v[0:1], v[110:111], v[48:49]
	v_mul_f64 v[2:3], v[108:109], v[48:49]
	v_fmac_f64_e32 v[0:1], v[108:109], v[46:47]
	v_fma_f64 v[2:3], v[110:111], v[46:47], -v[2:3]
	ds_write_b128 v21, v[0:3] offset:14144
	;; [unrolled: 6-line block ×4, first 2 shown]
	s_waitcnt vmcnt(0)
	v_mul_f64 v[0:1], v[122:123], v[52:53]
	v_mul_f64 v[2:3], v[120:121], v[52:53]
	v_fmac_f64_e32 v[0:1], v[120:121], v[50:51]
	v_fma_f64 v[2:3], v[122:123], v[50:51], -v[2:3]
	v_accvgpr_write_b32 a3, v27
	v_accvgpr_write_b32 a4, v28
	;; [unrolled: 1-line block ×3, first 2 shown]
	ds_write_b128 v21, v[12:15] offset:6528
	ds_write_b128 v21, v[8:11] offset:7616
	;; [unrolled: 1-line block ×4, first 2 shown]
	s_waitcnt lgkmcnt(0)
	s_barrier
	ds_read_b128 v[0:3], v21
	ds_read_b128 v[12:15], v21 offset:1088
	ds_read_b128 v[4:7], v21 offset:2176
	;; [unrolled: 1-line block ×16, first 2 shown]
	s_waitcnt lgkmcnt(14)
	v_add_f64 v[28:29], v[2:3], v[14:15]
	v_add_f64 v[26:27], v[0:1], v[12:13]
	;; [unrolled: 1-line block ×4, first 2 shown]
	s_waitcnt lgkmcnt(13)
	v_add_f64 v[28:29], v[28:29], v[114:115]
	v_add_f64 v[26:27], v[26:27], v[112:113]
	s_waitcnt lgkmcnt(12)
	v_add_f64 v[28:29], v[28:29], v[106:107]
	v_add_f64 v[26:27], v[26:27], v[104:105]
	;; [unrolled: 3-line block ×12, first 2 shown]
	s_waitcnt lgkmcnt(1)
	v_add_f64 v[28:29], v[28:29], v[18:19]
	s_mov_b32 s44, 0x2a9d6da3
	s_mov_b32 s50, 0x7c9e640b
	;; [unrolled: 1-line block ×7, first 2 shown]
	v_accvgpr_write_b32 a54, v136
	v_accvgpr_write_b32 a30, v54
	;; [unrolled: 1-line block ×6, first 2 shown]
	v_add_f64 v[26:27], v[26:27], v[16:17]
	s_waitcnt lgkmcnt(0)
	v_add_f64 v[70:71], v[28:29], v[118:119]
	v_add_f64 v[28:29], v[14:15], v[118:119]
	v_add_f64 v[14:15], v[14:15], -v[118:119]
	s_mov_b32 s29, 0xbfd71e95
	s_mov_b32 s22, 0x370991
	;; [unrolled: 1-line block ×16, first 2 shown]
	v_accvgpr_write_b32 a62, v144
	v_accvgpr_write_b32 a58, v140
	;; [unrolled: 1-line block ×25, first 2 shown]
	v_add_f64 v[68:69], v[26:27], v[116:117]
	v_add_f64 v[26:27], v[12:13], v[116:117]
	v_add_f64 v[12:13], v[12:13], -v[116:117]
	v_mul_f64 v[30:31], v[14:15], s[28:29]
	s_mov_b32 s23, 0x3fedd6d0
	v_mul_f64 v[38:39], v[14:15], s[44:45]
	s_mov_b32 s17, 0x3fe7a5f6
	;; [unrolled: 2-line block ×8, first 2 shown]
	v_accvgpr_write_b32 a66, v148
	v_accvgpr_write_b32 a63, v145
	;; [unrolled: 1-line block ×22, first 2 shown]
	v_fma_f64 v[32:33], v[26:27], s[22:23], -v[30:31]
	v_mul_f64 v[34:35], v[12:13], s[28:29]
	v_fmac_f64_e32 v[30:31], s[22:23], v[26:27]
	v_fma_f64 v[40:41], v[26:27], s[16:17], -v[38:39]
	v_mul_f64 v[42:43], v[12:13], s[44:45]
	v_fmac_f64_e32 v[38:39], s[16:17], v[26:27]
	;; [unrolled: 3-line block ×8, first 2 shown]
	v_accvgpr_write_b32 a67, v149
	v_accvgpr_write_b32 a68, v150
	;; [unrolled: 1-line block ×3, first 2 shown]
	v_add_f64 v[32:33], v[0:1], v[32:33]
	v_fma_f64 v[36:37], s[22:23], v[28:29], v[34:35]
	v_add_f64 v[30:31], v[0:1], v[30:31]
	v_fma_f64 v[34:35], v[28:29], s[22:23], -v[34:35]
	v_add_f64 v[40:41], v[0:1], v[40:41]
	v_fma_f64 v[44:45], s[16:17], v[28:29], v[42:43]
	v_add_f64 v[38:39], v[0:1], v[38:39]
	v_fma_f64 v[42:43], v[28:29], s[16:17], -v[42:43]
	;; [unrolled: 4-line block ×8, first 2 shown]
	v_add_f64 v[14:15], v[6:7], v[18:19]
	v_add_f64 v[6:7], v[6:7], -v[18:19]
	v_add_f64 v[36:37], v[2:3], v[36:37]
	v_add_f64 v[34:35], v[2:3], v[34:35]
	v_add_f64 v[44:45], v[2:3], v[44:45]
	v_add_f64 v[42:43], v[2:3], v[42:43]
	v_add_f64 v[52:53], v[2:3], v[52:53]
	v_add_f64 v[50:51], v[2:3], v[50:51]
	v_add_f64 v[120:121], v[2:3], v[120:121]
	v_add_f64 v[118:119], v[2:3], v[118:119]
	v_add_f64 v[128:129], v[2:3], v[128:129]
	v_add_f64 v[126:127], v[2:3], v[126:127]
	v_add_f64 v[136:137], v[2:3], v[136:137]
	v_add_f64 v[134:135], v[2:3], v[134:135]
	v_add_f64 v[144:145], v[2:3], v[144:145]
	v_add_f64 v[142:143], v[2:3], v[142:143]
	v_add_f64 v[148:149], v[2:3], v[148:149]
	v_add_f64 v[2:3], v[2:3], v[12:13]
	v_add_f64 v[12:13], v[4:5], v[16:17]
	v_add_f64 v[4:5], v[4:5], -v[16:17]
	v_mul_f64 v[16:17], v[6:7], s[44:45]
	v_fma_f64 v[18:19], v[12:13], s[16:17], -v[16:17]
	v_fmac_f64_e32 v[16:17], s[16:17], v[12:13]
	v_mul_f64 v[26:27], v[4:5], s[44:45]
	v_add_f64 v[16:17], v[16:17], v[30:31]
	v_mul_f64 v[30:31], v[6:7], s[36:37]
	v_add_f64 v[18:19], v[18:19], v[32:33]
	v_fma_f64 v[28:29], s[16:17], v[14:15], v[26:27]
	v_fma_f64 v[26:27], v[14:15], s[16:17], -v[26:27]
	v_fma_f64 v[32:33], v[12:13], s[0:1], -v[30:31]
	v_fmac_f64_e32 v[30:31], s[0:1], v[12:13]
	v_add_f64 v[26:27], v[26:27], v[34:35]
	v_mul_f64 v[34:35], v[4:5], s[36:37]
	v_add_f64 v[30:31], v[30:31], v[38:39]
	v_mul_f64 v[38:39], v[6:7], s[26:27]
	v_add_f64 v[28:29], v[28:29], v[36:37]
	v_add_f64 v[32:33], v[32:33], v[40:41]
	v_fma_f64 v[36:37], s[0:1], v[14:15], v[34:35]
	v_fma_f64 v[34:35], v[14:15], s[0:1], -v[34:35]
	v_fma_f64 v[40:41], v[12:13], s[24:25], -v[38:39]
	v_fmac_f64_e32 v[38:39], s[24:25], v[12:13]
	v_add_f64 v[34:35], v[34:35], v[42:43]
	v_mul_f64 v[42:43], v[4:5], s[26:27]
	v_add_f64 v[38:39], v[38:39], v[46:47]
	v_mul_f64 v[46:47], v[6:7], s[40:41]
	v_add_f64 v[36:37], v[36:37], v[44:45]
	v_add_f64 v[40:41], v[40:41], v[48:49]
	v_fma_f64 v[44:45], s[24:25], v[14:15], v[42:43]
	v_fma_f64 v[42:43], v[14:15], s[24:25], -v[42:43]
	v_fma_f64 v[48:49], v[12:13], s[38:39], -v[46:47]
	v_fmac_f64_e32 v[46:47], s[38:39], v[12:13]
	s_mov_b32 s55, 0x3fe0d888
	s_mov_b32 s54, s34
	v_add_f64 v[42:43], v[42:43], v[50:51]
	v_mul_f64 v[50:51], v[4:5], s[40:41]
	v_add_f64 v[46:47], v[46:47], v[54:55]
	v_mul_f64 v[54:55], v[6:7], s[54:55]
	v_add_f64 v[44:45], v[44:45], v[52:53]
	v_add_f64 v[48:49], v[48:49], v[116:117]
	v_fma_f64 v[52:53], s[38:39], v[14:15], v[50:51]
	v_fma_f64 v[50:51], v[14:15], s[38:39], -v[50:51]
	v_fma_f64 v[116:117], v[12:13], s[30:31], -v[54:55]
	v_fmac_f64_e32 v[54:55], s[30:31], v[12:13]
	s_mov_b32 s53, 0x3feec746
	s_mov_b32 s52, s20
	;; [unrolled: 12-line block ×3, first 2 shown]
	v_add_f64 v[118:119], v[118:119], v[126:127]
	v_mul_f64 v[126:127], v[4:5], s[52:53]
	v_add_f64 v[122:123], v[122:123], v[130:131]
	v_mul_f64 v[130:131], v[6:7], s[42:43]
	s_mov_b32 s47, 0x3fd71e95
	s_mov_b32 s46, s28
	v_add_f64 v[120:121], v[120:121], v[128:129]
	v_add_f64 v[124:125], v[124:125], v[132:133]
	v_fma_f64 v[128:129], s[18:19], v[14:15], v[126:127]
	v_fma_f64 v[126:127], v[14:15], s[18:19], -v[126:127]
	v_fma_f64 v[132:133], v[12:13], s[14:15], -v[130:131]
	v_fmac_f64_e32 v[130:131], s[14:15], v[12:13]
	v_mul_f64 v[6:7], v[6:7], s[46:47]
	v_add_f64 v[126:127], v[126:127], v[134:135]
	v_mul_f64 v[134:135], v[4:5], s[42:43]
	v_add_f64 v[130:131], v[130:131], v[138:139]
	v_fma_f64 v[138:139], v[12:13], s[22:23], -v[6:7]
	v_mul_f64 v[4:5], v[4:5], s[46:47]
	v_fmac_f64_e32 v[6:7], s[22:23], v[12:13]
	v_add_f64 v[132:133], v[132:133], v[140:141]
	v_fma_f64 v[140:141], s[22:23], v[14:15], v[4:5]
	v_add_f64 v[0:1], v[6:7], v[0:1]
	v_fma_f64 v[4:5], v[14:15], s[22:23], -v[4:5]
	v_add_f64 v[6:7], v[114:115], v[10:11]
	v_add_f64 v[10:11], v[114:115], -v[10:11]
	v_add_f64 v[2:3], v[4:5], v[2:3]
	v_add_f64 v[4:5], v[112:113], v[8:9]
	v_mul_f64 v[12:13], v[10:11], s[50:51]
	v_add_f64 v[128:129], v[128:129], v[136:137]
	v_fma_f64 v[136:137], s[14:15], v[14:15], v[134:135]
	v_fma_f64 v[134:135], v[14:15], s[14:15], -v[134:135]
	v_add_f64 v[8:9], v[112:113], -v[8:9]
	v_fma_f64 v[14:15], v[4:5], s[14:15], -v[12:13]
	v_add_f64 v[14:15], v[14:15], v[18:19]
	v_mul_f64 v[18:19], v[8:9], s[50:51]
	v_fmac_f64_e32 v[12:13], s[14:15], v[4:5]
	v_fma_f64 v[112:113], s[14:15], v[6:7], v[18:19]
	v_add_f64 v[12:13], v[12:13], v[16:17]
	v_fma_f64 v[16:17], v[6:7], s[14:15], -v[18:19]
	v_mul_f64 v[18:19], v[10:11], s[26:27]
	v_add_f64 v[16:17], v[16:17], v[26:27]
	v_fma_f64 v[26:27], v[4:5], s[24:25], -v[18:19]
	v_add_f64 v[26:27], v[26:27], v[32:33]
	v_mul_f64 v[32:33], v[8:9], s[26:27]
	v_fmac_f64_e32 v[18:19], s[24:25], v[4:5]
	s_mov_b32 s49, 0x3fc7851a
	s_mov_b32 s48, s40
	v_add_f64 v[28:29], v[112:113], v[28:29]
	v_fma_f64 v[112:113], s[24:25], v[6:7], v[32:33]
	v_add_f64 v[18:19], v[18:19], v[30:31]
	v_fma_f64 v[30:31], v[6:7], s[24:25], -v[32:33]
	v_mul_f64 v[32:33], v[10:11], s[48:49]
	v_add_f64 v[30:31], v[30:31], v[34:35]
	v_fma_f64 v[34:35], v[4:5], s[38:39], -v[32:33]
	v_add_f64 v[34:35], v[34:35], v[40:41]
	v_mul_f64 v[40:41], v[8:9], s[48:49]
	v_fmac_f64_e32 v[32:33], s[38:39], v[4:5]
	v_add_f64 v[36:37], v[112:113], v[36:37]
	v_fma_f64 v[112:113], s[38:39], v[6:7], v[40:41]
	v_add_f64 v[32:33], v[32:33], v[38:39]
	v_fma_f64 v[38:39], v[6:7], s[38:39], -v[40:41]
	v_mul_f64 v[40:41], v[10:11], s[52:53]
	v_add_f64 v[38:39], v[38:39], v[42:43]
	v_fma_f64 v[42:43], v[4:5], s[18:19], -v[40:41]
	v_add_f64 v[42:43], v[42:43], v[48:49]
	v_mul_f64 v[48:49], v[8:9], s[52:53]
	v_fmac_f64_e32 v[40:41], s[18:19], v[4:5]
	s_mov_b32 s49, 0x3fe58eea
	s_mov_b32 s48, s44
	v_add_f64 v[44:45], v[112:113], v[44:45]
	v_fma_f64 v[112:113], s[18:19], v[6:7], v[48:49]
	v_add_f64 v[40:41], v[40:41], v[46:47]
	v_fma_f64 v[46:47], v[6:7], s[18:19], -v[48:49]
	v_mul_f64 v[48:49], v[10:11], s[48:49]
	v_add_f64 v[52:53], v[112:113], v[52:53]
	v_add_f64 v[46:47], v[46:47], v[50:51]
	v_fma_f64 v[50:51], v[4:5], s[16:17], -v[48:49]
	v_mul_f64 v[112:113], v[8:9], s[48:49]
	v_fmac_f64_e32 v[48:49], s[16:17], v[4:5]
	v_fma_f64 v[114:115], s[16:17], v[6:7], v[112:113]
	v_add_f64 v[48:49], v[48:49], v[54:55]
	v_fma_f64 v[54:55], v[6:7], s[16:17], -v[112:113]
	v_mul_f64 v[112:113], v[10:11], s[28:29]
	v_add_f64 v[50:51], v[50:51], v[116:117]
	v_fma_f64 v[116:117], v[4:5], s[22:23], -v[112:113]
	v_fmac_f64_e32 v[112:113], s[22:23], v[4:5]
	v_add_f64 v[54:55], v[54:55], v[118:119]
	v_mul_f64 v[118:119], v[8:9], s[28:29]
	v_add_f64 v[112:113], v[112:113], v[122:123]
	v_mul_f64 v[122:123], v[10:11], s[36:37]
	v_add_f64 v[114:115], v[114:115], v[120:121]
	v_add_f64 v[116:117], v[116:117], v[124:125]
	v_fma_f64 v[120:121], s[22:23], v[6:7], v[118:119]
	v_fma_f64 v[118:119], v[6:7], s[22:23], -v[118:119]
	v_fma_f64 v[124:125], v[4:5], s[0:1], -v[122:123]
	v_fmac_f64_e32 v[122:123], s[0:1], v[4:5]
	v_mul_f64 v[10:11], v[10:11], s[34:35]
	v_add_f64 v[118:119], v[118:119], v[126:127]
	v_mul_f64 v[126:127], v[8:9], s[36:37]
	v_add_f64 v[122:123], v[122:123], v[130:131]
	v_fma_f64 v[130:131], v[4:5], s[30:31], -v[10:11]
	v_mul_f64 v[8:9], v[8:9], s[34:35]
	v_fmac_f64_e32 v[10:11], s[30:31], v[4:5]
	v_add_f64 v[0:1], v[10:11], v[0:1]
	v_fma_f64 v[4:5], v[6:7], s[30:31], -v[8:9]
	v_add_f64 v[10:11], v[106:107], -v[110:111]
	v_add_f64 v[124:125], v[124:125], v[132:133]
	v_fma_f64 v[132:133], s[30:31], v[6:7], v[8:9]
	v_add_f64 v[2:3], v[4:5], v[2:3]
	v_add_f64 v[4:5], v[104:105], v[108:109]
	v_add_f64 v[8:9], v[104:105], -v[108:109]
	v_mul_f64 v[104:105], v[10:11], s[36:37]
	v_add_f64 v[120:121], v[120:121], v[128:129]
	v_fma_f64 v[128:129], s[0:1], v[6:7], v[126:127]
	v_fma_f64 v[126:127], v[6:7], s[0:1], -v[126:127]
	v_add_f64 v[6:7], v[106:107], v[110:111]
	v_fma_f64 v[106:107], v[4:5], s[0:1], -v[104:105]
	v_add_f64 v[14:15], v[106:107], v[14:15]
	v_mul_f64 v[106:107], v[8:9], s[36:37]
	v_fmac_f64_e32 v[104:105], s[0:1], v[4:5]
	v_add_f64 v[12:13], v[104:105], v[12:13]
	v_fma_f64 v[104:105], v[6:7], s[0:1], -v[106:107]
	v_add_f64 v[16:17], v[104:105], v[16:17]
	v_mul_f64 v[104:105], v[10:11], s[40:41]
	v_fma_f64 v[108:109], s[0:1], v[6:7], v[106:107]
	v_fma_f64 v[106:107], v[4:5], s[38:39], -v[104:105]
	v_add_f64 v[26:27], v[106:107], v[26:27]
	v_mul_f64 v[106:107], v[8:9], s[40:41]
	v_fmac_f64_e32 v[104:105], s[38:39], v[4:5]
	v_add_f64 v[18:19], v[104:105], v[18:19]
	v_fma_f64 v[104:105], v[6:7], s[38:39], -v[106:107]
	v_add_f64 v[30:31], v[104:105], v[30:31]
	v_mul_f64 v[104:105], v[10:11], s[52:53]
	v_add_f64 v[28:29], v[108:109], v[28:29]
	v_fma_f64 v[108:109], s[38:39], v[6:7], v[106:107]
	v_fma_f64 v[106:107], v[4:5], s[18:19], -v[104:105]
	v_add_f64 v[34:35], v[106:107], v[34:35]
	v_mul_f64 v[106:107], v[8:9], s[52:53]
	v_fmac_f64_e32 v[104:105], s[18:19], v[4:5]
	v_add_f64 v[32:33], v[104:105], v[32:33]
	v_fma_f64 v[104:105], v[6:7], s[18:19], -v[106:107]
	v_add_f64 v[38:39], v[104:105], v[38:39]
	v_mul_f64 v[104:105], v[10:11], s[46:47]
	v_add_f64 v[36:37], v[108:109], v[36:37]
	;; [unrolled: 10-line block ×4, first 2 shown]
	v_fma_f64 v[108:109], s[14:15], v[6:7], v[106:107]
	v_fma_f64 v[106:107], v[4:5], s[30:31], -v[104:105]
	v_fmac_f64_e32 v[104:105], s[30:31], v[4:5]
	s_mov_b32 s57, 0x3fe9895b
	s_mov_b32 s56, s26
	v_mul_f64 v[110:111], v[8:9], s[34:35]
	v_add_f64 v[104:105], v[104:105], v[112:113]
	v_mul_f64 v[112:113], v[10:11], s[56:57]
	v_add_f64 v[108:109], v[108:109], v[114:115]
	v_add_f64 v[106:107], v[106:107], v[116:117]
	v_fma_f64 v[114:115], s[30:31], v[6:7], v[110:111]
	v_fma_f64 v[110:111], v[6:7], s[30:31], -v[110:111]
	v_fma_f64 v[116:117], v[4:5], s[24:25], -v[112:113]
	v_fmac_f64_e32 v[112:113], s[24:25], v[4:5]
	v_mul_f64 v[10:11], v[10:11], s[48:49]
	v_add_f64 v[110:111], v[110:111], v[118:119]
	v_mul_f64 v[118:119], v[8:9], s[56:57]
	v_add_f64 v[112:113], v[112:113], v[122:123]
	v_fma_f64 v[122:123], v[4:5], s[16:17], -v[10:11]
	v_mul_f64 v[8:9], v[8:9], s[48:49]
	v_fmac_f64_e32 v[10:11], s[16:17], v[4:5]
	v_add_f64 v[0:1], v[10:11], v[0:1]
	v_fma_f64 v[4:5], v[6:7], s[16:17], -v[8:9]
	v_add_f64 v[10:11], v[98:99], -v[102:103]
	v_add_f64 v[116:117], v[116:117], v[124:125]
	v_fma_f64 v[124:125], s[16:17], v[6:7], v[8:9]
	v_add_f64 v[2:3], v[4:5], v[2:3]
	v_add_f64 v[4:5], v[96:97], v[100:101]
	v_add_f64 v[8:9], v[96:97], -v[100:101]
	v_mul_f64 v[96:97], v[10:11], s[20:21]
	v_add_f64 v[114:115], v[114:115], v[120:121]
	v_fma_f64 v[120:121], s[24:25], v[6:7], v[118:119]
	v_fma_f64 v[118:119], v[6:7], s[24:25], -v[118:119]
	v_add_f64 v[6:7], v[98:99], v[102:103]
	v_fma_f64 v[98:99], v[4:5], s[18:19], -v[96:97]
	v_add_f64 v[14:15], v[98:99], v[14:15]
	v_mul_f64 v[98:99], v[8:9], s[20:21]
	v_fmac_f64_e32 v[96:97], s[18:19], v[4:5]
	v_add_f64 v[12:13], v[96:97], v[12:13]
	v_fma_f64 v[96:97], v[6:7], s[18:19], -v[98:99]
	v_add_f64 v[16:17], v[96:97], v[16:17]
	v_mul_f64 v[96:97], v[10:11], s[54:55]
	v_fma_f64 v[100:101], s[18:19], v[6:7], v[98:99]
	v_fma_f64 v[98:99], v[4:5], s[30:31], -v[96:97]
	v_add_f64 v[26:27], v[98:99], v[26:27]
	v_mul_f64 v[98:99], v[8:9], s[54:55]
	v_fmac_f64_e32 v[96:97], s[30:31], v[4:5]
	v_add_f64 v[18:19], v[96:97], v[18:19]
	v_fma_f64 v[96:97], v[6:7], s[30:31], -v[98:99]
	v_add_f64 v[30:31], v[96:97], v[30:31]
	v_mul_f64 v[96:97], v[10:11], s[48:49]
	v_add_f64 v[28:29], v[100:101], v[28:29]
	v_fma_f64 v[100:101], s[30:31], v[6:7], v[98:99]
	v_fma_f64 v[98:99], v[4:5], s[16:17], -v[96:97]
	v_add_f64 v[34:35], v[98:99], v[34:35]
	v_mul_f64 v[98:99], v[8:9], s[48:49]
	v_fmac_f64_e32 v[96:97], s[16:17], v[4:5]
	v_add_f64 v[32:33], v[96:97], v[32:33]
	v_fma_f64 v[96:97], v[6:7], s[16:17], -v[98:99]
	v_add_f64 v[38:39], v[96:97], v[38:39]
	v_mul_f64 v[96:97], v[10:11], s[50:51]
	v_add_f64 v[36:37], v[100:101], v[36:37]
	;; [unrolled: 10-line block ×3, first 2 shown]
	v_fma_f64 v[100:101], s[14:15], v[6:7], v[98:99]
	v_fma_f64 v[98:99], v[4:5], s[38:39], -v[96:97]
	v_add_f64 v[50:51], v[98:99], v[50:51]
	v_mul_f64 v[98:99], v[8:9], s[40:41]
	v_fmac_f64_e32 v[96:97], s[38:39], v[4:5]
	v_add_f64 v[48:49], v[96:97], v[48:49]
	v_fma_f64 v[96:97], v[6:7], s[38:39], -v[98:99]
	s_mov_b32 s51, 0x3fefdd0d
	s_mov_b32 s50, s36
	v_add_f64 v[54:55], v[96:97], v[54:55]
	v_mul_f64 v[96:97], v[10:11], s[50:51]
	v_add_f64 v[52:53], v[100:101], v[52:53]
	v_fma_f64 v[100:101], s[38:39], v[6:7], v[98:99]
	v_fma_f64 v[98:99], v[4:5], s[0:1], -v[96:97]
	v_fmac_f64_e32 v[96:97], s[0:1], v[4:5]
	v_mul_f64 v[102:103], v[8:9], s[50:51]
	v_add_f64 v[96:97], v[96:97], v[104:105]
	v_mul_f64 v[104:105], v[10:11], s[28:29]
	v_add_f64 v[100:101], v[100:101], v[108:109]
	v_add_f64 v[98:99], v[98:99], v[106:107]
	v_fma_f64 v[106:107], s[0:1], v[6:7], v[102:103]
	v_fma_f64 v[102:103], v[6:7], s[0:1], -v[102:103]
	v_fma_f64 v[108:109], v[4:5], s[22:23], -v[104:105]
	v_fmac_f64_e32 v[104:105], s[22:23], v[4:5]
	v_mul_f64 v[10:11], v[10:11], s[26:27]
	v_add_f64 v[102:103], v[102:103], v[110:111]
	v_mul_f64 v[110:111], v[8:9], s[28:29]
	v_add_f64 v[104:105], v[104:105], v[112:113]
	v_fma_f64 v[112:113], v[4:5], s[24:25], -v[10:11]
	v_mul_f64 v[8:9], v[8:9], s[26:27]
	v_fmac_f64_e32 v[10:11], s[24:25], v[4:5]
	v_add_f64 v[0:1], v[10:11], v[0:1]
	v_fma_f64 v[4:5], v[6:7], s[24:25], -v[8:9]
	v_add_f64 v[10:11], v[90:91], -v[94:95]
	v_add_f64 v[108:109], v[108:109], v[116:117]
	v_fma_f64 v[116:117], s[24:25], v[6:7], v[8:9]
	v_add_f64 v[2:3], v[4:5], v[2:3]
	v_add_f64 v[4:5], v[88:89], v[92:93]
	v_add_f64 v[8:9], v[88:89], -v[92:93]
	v_mul_f64 v[88:89], v[10:11], s[26:27]
	v_add_f64 v[106:107], v[106:107], v[114:115]
	v_fma_f64 v[114:115], s[22:23], v[6:7], v[110:111]
	v_fma_f64 v[110:111], v[6:7], s[22:23], -v[110:111]
	v_add_f64 v[6:7], v[90:91], v[94:95]
	v_fma_f64 v[90:91], v[4:5], s[24:25], -v[88:89]
	v_add_f64 v[14:15], v[90:91], v[14:15]
	v_mul_f64 v[90:91], v[8:9], s[26:27]
	v_fmac_f64_e32 v[88:89], s[24:25], v[4:5]
	v_add_f64 v[12:13], v[88:89], v[12:13]
	v_fma_f64 v[88:89], v[6:7], s[24:25], -v[90:91]
	v_add_f64 v[16:17], v[88:89], v[16:17]
	v_mul_f64 v[88:89], v[10:11], s[52:53]
	v_fma_f64 v[92:93], s[24:25], v[6:7], v[90:91]
	v_fma_f64 v[90:91], v[4:5], s[18:19], -v[88:89]
	v_add_f64 v[26:27], v[90:91], v[26:27]
	v_mul_f64 v[90:91], v[8:9], s[52:53]
	v_fmac_f64_e32 v[88:89], s[18:19], v[4:5]
	v_add_f64 v[18:19], v[88:89], v[18:19]
	v_fma_f64 v[88:89], v[6:7], s[18:19], -v[90:91]
	v_add_f64 v[30:31], v[88:89], v[30:31]
	v_mul_f64 v[88:89], v[10:11], s[28:29]
	v_add_f64 v[28:29], v[92:93], v[28:29]
	v_fma_f64 v[92:93], s[18:19], v[6:7], v[90:91]
	v_fma_f64 v[90:91], v[4:5], s[22:23], -v[88:89]
	v_add_f64 v[34:35], v[90:91], v[34:35]
	v_mul_f64 v[90:91], v[8:9], s[28:29]
	v_fmac_f64_e32 v[88:89], s[22:23], v[4:5]
	v_add_f64 v[32:33], v[88:89], v[32:33]
	v_fma_f64 v[88:89], v[6:7], s[22:23], -v[90:91]
	v_add_f64 v[38:39], v[88:89], v[38:39]
	v_mul_f64 v[88:89], v[10:11], s[34:35]
	v_add_f64 v[36:37], v[92:93], v[36:37]
	;; [unrolled: 10-line block ×4, first 2 shown]
	v_fma_f64 v[92:93], s[0:1], v[6:7], v[90:91]
	v_fma_f64 v[90:91], v[4:5], s[16:17], -v[88:89]
	v_fmac_f64_e32 v[88:89], s[16:17], v[4:5]
	v_mul_f64 v[94:95], v[8:9], s[44:45]
	v_add_f64 v[88:89], v[88:89], v[96:97]
	v_mul_f64 v[96:97], v[10:11], s[40:41]
	v_add_f64 v[92:93], v[92:93], v[100:101]
	v_add_f64 v[90:91], v[90:91], v[98:99]
	v_fma_f64 v[98:99], s[16:17], v[6:7], v[94:95]
	v_fma_f64 v[94:95], v[6:7], s[16:17], -v[94:95]
	v_fma_f64 v[100:101], v[4:5], s[38:39], -v[96:97]
	v_fmac_f64_e32 v[96:97], s[38:39], v[4:5]
	v_mul_f64 v[10:11], v[10:11], s[42:43]
	v_add_f64 v[94:95], v[94:95], v[102:103]
	v_mul_f64 v[102:103], v[8:9], s[40:41]
	v_add_f64 v[96:97], v[96:97], v[104:105]
	v_fma_f64 v[104:105], v[4:5], s[14:15], -v[10:11]
	v_mul_f64 v[8:9], v[8:9], s[42:43]
	v_fmac_f64_e32 v[10:11], s[14:15], v[4:5]
	v_add_f64 v[0:1], v[10:11], v[0:1]
	v_fma_f64 v[4:5], v[6:7], s[14:15], -v[8:9]
	v_add_f64 v[10:11], v[82:83], -v[86:87]
	v_add_f64 v[100:101], v[100:101], v[108:109]
	v_fma_f64 v[108:109], s[14:15], v[6:7], v[8:9]
	v_add_f64 v[2:3], v[4:5], v[2:3]
	v_add_f64 v[4:5], v[80:81], v[84:85]
	v_add_f64 v[8:9], v[80:81], -v[84:85]
	v_mul_f64 v[80:81], v[10:11], s[34:35]
	v_add_f64 v[98:99], v[98:99], v[106:107]
	v_fma_f64 v[106:107], s[38:39], v[6:7], v[102:103]
	v_fma_f64 v[102:103], v[6:7], s[38:39], -v[102:103]
	v_add_f64 v[6:7], v[82:83], v[86:87]
	v_fma_f64 v[82:83], v[4:5], s[30:31], -v[80:81]
	v_add_f64 v[14:15], v[82:83], v[14:15]
	v_mul_f64 v[82:83], v[8:9], s[34:35]
	v_fmac_f64_e32 v[80:81], s[30:31], v[4:5]
	v_add_f64 v[12:13], v[80:81], v[12:13]
	v_fma_f64 v[80:81], v[6:7], s[30:31], -v[82:83]
	v_add_f64 v[16:17], v[80:81], v[16:17]
	v_mul_f64 v[80:81], v[10:11], s[42:43]
	v_fma_f64 v[84:85], s[30:31], v[6:7], v[82:83]
	v_fma_f64 v[82:83], v[4:5], s[14:15], -v[80:81]
	v_add_f64 v[26:27], v[82:83], v[26:27]
	v_mul_f64 v[82:83], v[8:9], s[42:43]
	v_fmac_f64_e32 v[80:81], s[14:15], v[4:5]
	v_add_f64 v[18:19], v[80:81], v[18:19]
	v_fma_f64 v[80:81], v[6:7], s[14:15], -v[82:83]
	v_add_f64 v[30:31], v[80:81], v[30:31]
	v_mul_f64 v[80:81], v[10:11], s[36:37]
	v_add_f64 v[28:29], v[84:85], v[28:29]
	v_fma_f64 v[84:85], s[14:15], v[6:7], v[82:83]
	v_fma_f64 v[82:83], v[4:5], s[0:1], -v[80:81]
	v_add_f64 v[34:35], v[82:83], v[34:35]
	v_mul_f64 v[82:83], v[8:9], s[36:37]
	v_fmac_f64_e32 v[80:81], s[0:1], v[4:5]
	v_add_f64 v[32:33], v[80:81], v[32:33]
	v_fma_f64 v[80:81], v[6:7], s[0:1], -v[82:83]
	v_add_f64 v[38:39], v[80:81], v[38:39]
	v_mul_f64 v[80:81], v[10:11], s[56:57]
	v_add_f64 v[36:37], v[84:85], v[36:37]
	;; [unrolled: 10-line block ×4, first 2 shown]
	v_fma_f64 v[84:85], s[22:23], v[6:7], v[82:83]
	v_fma_f64 v[82:83], v[4:5], s[38:39], -v[80:81]
	v_add_f64 v[90:91], v[82:83], v[90:91]
	v_mul_f64 v[82:83], v[8:9], s[40:41]
	v_fma_f64 v[86:87], s[38:39], v[6:7], v[82:83]
	v_fmac_f64_e32 v[80:81], s[38:39], v[4:5]
	v_add_f64 v[134:135], v[134:135], v[142:143]
	v_add_f64 v[138:139], v[138:139], v[146:147]
	v_add_f64 v[84:85], v[84:85], v[92:93]
	v_add_f64 v[92:93], v[86:87], v[98:99]
	v_add_f64 v[98:99], v[80:81], v[88:89]
	v_fma_f64 v[80:81], v[6:7], s[38:39], -v[82:83]
	v_add_f64 v[126:127], v[126:127], v[134:135]
	v_add_f64 v[130:131], v[130:131], v[138:139]
	;; [unrolled: 1-line block ×3, first 2 shown]
	v_mul_f64 v[80:81], v[10:11], s[48:49]
	v_add_f64 v[136:137], v[136:137], v[144:145]
	v_add_f64 v[140:141], v[140:141], v[148:149]
	;; [unrolled: 1-line block ×4, first 2 shown]
	v_fma_f64 v[82:83], v[4:5], s[16:17], -v[80:81]
	v_add_f64 v[128:129], v[128:129], v[136:137]
	v_add_f64 v[132:133], v[132:133], v[140:141]
	;; [unrolled: 1-line block ×5, first 2 shown]
	v_mul_f64 v[82:83], v[8:9], s[48:49]
	v_fmac_f64_e32 v[80:81], s[16:17], v[4:5]
	v_add_f64 v[120:121], v[120:121], v[128:129]
	v_add_f64 v[124:125], v[124:125], v[132:133]
	;; [unrolled: 1-line block ×5, first 2 shown]
	v_fma_f64 v[80:81], v[6:7], s[16:17], -v[82:83]
	v_mul_f64 v[10:11], v[10:11], s[20:21]
	v_add_f64 v[114:115], v[114:115], v[120:121]
	v_add_f64 v[116:117], v[116:117], v[124:125]
	;; [unrolled: 1-line block ×3, first 2 shown]
	v_fma_f64 v[80:81], v[4:5], s[18:19], -v[10:11]
	v_mul_f64 v[8:9], v[8:9], s[20:21]
	v_add_f64 v[106:107], v[106:107], v[114:115]
	v_add_f64 v[108:109], v[108:109], v[116:117]
	;; [unrolled: 1-line block ×3, first 2 shown]
	v_fma_f64 v[80:81], s[18:19], v[6:7], v[8:9]
	v_add_f64 v[116:117], v[80:81], v[108:109]
	v_fmac_f64_e32 v[10:11], s[18:19], v[4:5]
	v_add_f64 v[108:109], v[74:75], -v[78:79]
	v_add_f64 v[118:119], v[10:11], v[0:1]
	v_fma_f64 v[0:1], v[6:7], s[18:19], -v[8:9]
	v_add_f64 v[122:123], v[72:73], v[76:77]
	v_add_f64 v[126:127], v[72:73], -v[76:77]
	v_mul_f64 v[4:5], v[108:109], s[40:41]
	v_fma_f64 v[86:87], s[16:17], v[6:7], v[82:83]
	v_add_f64 v[120:121], v[0:1], v[2:3]
	v_add_f64 v[124:125], v[74:75], v[78:79]
	v_fma_f64 v[0:1], v[122:123], s[38:39], -v[4:5]
	v_mul_f64 v[6:7], v[126:127], s[40:41]
	v_fmac_f64_e32 v[4:5], s[38:39], v[122:123]
	v_add_f64 v[104:105], v[4:5], v[12:13]
	v_fma_f64 v[4:5], v[124:125], s[38:39], -v[6:7]
	v_mul_f64 v[8:9], v[108:109], s[46:47]
	v_add_f64 v[110:111], v[86:87], v[106:107]
	v_add_f64 v[106:107], v[4:5], v[16:17]
	v_fma_f64 v[4:5], v[122:123], s[22:23], -v[8:9]
	v_fma_f64 v[2:3], s[38:39], v[124:125], v[6:7]
	v_add_f64 v[4:5], v[4:5], v[26:27]
	v_mul_f64 v[26:27], v[108:109], s[48:49]
	v_add_f64 v[2:3], v[2:3], v[28:29]
	v_fma_f64 v[28:29], v[122:123], s[16:17], -v[26:27]
	v_add_f64 v[72:73], v[28:29], v[42:43]
	v_mul_f64 v[28:29], v[126:127], s[48:49]
	v_fmac_f64_e32 v[26:27], s[16:17], v[122:123]
	v_mul_f64 v[10:11], v[126:127], s[46:47]
	v_add_f64 v[76:77], v[26:27], v[40:41]
	v_fma_f64 v[26:27], v[124:125], s[16:17], -v[28:29]
	v_fma_f64 v[6:7], s[22:23], v[124:125], v[10:11]
	v_fma_f64 v[10:11], v[124:125], s[22:23], -v[10:11]
	v_add_f64 v[78:79], v[26:27], v[46:47]
	v_mul_f64 v[26:27], v[108:109], s[26:27]
	v_add_f64 v[10:11], v[10:11], v[30:31]
	v_fma_f64 v[30:31], s[16:17], v[124:125], v[28:29]
	v_fma_f64 v[28:29], v[122:123], s[24:25], -v[26:27]
	v_add_f64 v[80:81], v[28:29], v[50:51]
	v_mul_f64 v[28:29], v[126:127], s[26:27]
	v_add_f64 v[74:75], v[30:31], v[52:53]
	v_fma_f64 v[30:31], s[24:25], v[124:125], v[28:29]
	v_fmac_f64_e32 v[26:27], s[24:25], v[122:123]
	v_add_f64 v[82:83], v[30:31], v[84:85]
	v_add_f64 v[84:85], v[26:27], v[48:49]
	v_fma_f64 v[26:27], v[124:125], s[24:25], -v[28:29]
	v_add_f64 v[86:87], v[26:27], v[54:55]
	v_mul_f64 v[26:27], v[108:109], s[42:43]
	v_fma_f64 v[28:29], v[122:123], s[14:15], -v[26:27]
	v_add_f64 v[88:89], v[28:29], v[90:91]
	v_mul_f64 v[28:29], v[126:127], s[42:43]
	v_fma_f64 v[30:31], s[14:15], v[124:125], v[28:29]
	v_fmac_f64_e32 v[26:27], s[14:15], v[122:123]
	v_add_f64 v[90:91], v[30:31], v[92:93]
	v_add_f64 v[92:93], v[26:27], v[98:99]
	v_fma_f64 v[26:27], v[124:125], s[14:15], -v[28:29]
	v_add_f64 v[94:95], v[26:27], v[94:95]
	v_mul_f64 v[26:27], v[108:109], s[20:21]
	v_fma_f64 v[28:29], v[122:123], s[18:19], -v[26:27]
	v_add_f64 v[96:97], v[28:29], v[100:101]
	v_mul_f64 v[28:29], v[126:127], s[20:21]
	v_fmac_f64_e32 v[26:27], s[18:19], v[122:123]
	v_add_f64 v[100:101], v[26:27], v[112:113]
	v_fma_f64 v[26:27], v[124:125], s[18:19], -v[28:29]
	v_add_f64 v[102:103], v[26:27], v[102:103]
	v_mul_f64 v[26:27], v[108:109], s[50:51]
	v_fma_f64 v[30:31], s[18:19], v[124:125], v[28:29]
	v_fma_f64 v[28:29], v[122:123], s[0:1], -v[26:27]
	v_fmac_f64_e32 v[8:9], s[22:23], v[122:123]
	v_mul_f64 v[16:17], v[108:109], s[34:35]
	v_add_f64 v[108:109], v[28:29], v[114:115]
	v_mul_f64 v[28:29], v[126:127], s[50:51]
	v_fmac_f64_e32 v[26:27], s[0:1], v[122:123]
	v_add_f64 v[8:9], v[8:9], v[18:19]
	v_mul_f64 v[18:19], v[126:127], s[34:35]
	v_add_f64 v[98:99], v[30:31], v[110:111]
	v_fma_f64 v[30:31], s[0:1], v[124:125], v[28:29]
	v_add_f64 v[112:113], v[26:27], v[118:119]
	v_fma_f64 v[26:27], v[124:125], s[0:1], -v[28:29]
	v_mul_lo_u16_e32 v22, 17, v20
	v_add_f64 v[0:1], v[0:1], v[14:15]
	v_fma_f64 v[12:13], v[122:123], s[30:31], -v[16:17]
	v_fma_f64 v[14:15], s[30:31], v[124:125], v[18:19]
	v_fmac_f64_e32 v[16:17], s[30:31], v[122:123]
	v_fma_f64 v[18:19], v[124:125], s[30:31], -v[18:19]
	v_add_f64 v[110:111], v[30:31], v[116:117]
	v_add_f64 v[114:115], v[26:27], v[120:121]
	v_lshl_add_u32 v24, v22, 4, v23
	v_add_f64 v[6:7], v[6:7], v[36:37]
	v_add_f64 v[12:13], v[12:13], v[34:35]
	;; [unrolled: 1-line block ×5, first 2 shown]
	s_barrier
	ds_write_b128 v24, v[68:71]
	ds_write_b128 v24, v[0:3] offset:16
	ds_write_b128 v24, v[4:7] offset:32
	;; [unrolled: 1-line block ×16, first 2 shown]
	s_waitcnt lgkmcnt(0)
	s_barrier
	ds_read_b128 v[136:139], v21
	ds_read_b128 v[132:135], v21 offset:1088
	ds_read_b128 v[164:167], v21 offset:9248
	;; [unrolled: 1-line block ×15, first 2 shown]
	v_accvgpr_write_b32 a38, v62
	v_accvgpr_write_b32 a34, v58
	;; [unrolled: 1-line block ×8, first 2 shown]
	v_mov_b32_e32 v255, v23
	v_cmp_gt_u16_e64 s[0:1], 34, v20
                                        ; implicit-def: $vgpr148_vgpr149
	s_and_saveexec_b64 s[14:15], s[0:1]
	s_cbranch_execz .LBB0_3
; %bb.2:
	ds_read_b128 v[104:107], v21 offset:8704
	ds_read_b128 v[148:151], v21 offset:17952
.LBB0_3:
	s_or_b64 exec, exec, s[14:15]
	s_movk_i32 s8, 0x110
	v_add_co_u32_e32 v5, vcc, s8, v20
	s_movk_i32 s8, 0x154
	v_add_co_u32_e32 v6, vcc, s8, v20
	;; [unrolled: 2-line block ×4, first 2 shown]
	v_add_co_u32_e32 v8, vcc, s8, v20
	s_movk_i32 s8, 0x220
	v_add_co_u32_e32 v12, vcc, s8, v20
	s_movk_i32 s8, 0xf1
	v_mul_lo_u16_sdwa v9, v20, s8 dst_sel:DWORD dst_unused:UNUSED_PAD src0_sel:BYTE_0 src1_sel:DWORD
	v_add_u16_e32 v11, 0x44, v20
	v_lshrrev_b16_e32 v22, 12, v9
	v_mul_lo_u16_sdwa v14, v11, s8 dst_sel:DWORD dst_unused:UNUSED_PAD src0_sel:BYTE_0 src1_sel:DWORD
	v_mul_lo_u16_e32 v9, 17, v22
	v_lshrrev_b16_e32 v52, 12, v14
	v_sub_u16_e32 v23, v20, v9
	v_mov_b32_e32 v9, 4
	v_mul_lo_u16_e32 v14, 17, v52
	v_lshlrev_b32_sdwa v10, v9, v23 dst_sel:DWORD dst_unused:UNUSED_PAD src0_sel:DWORD src1_sel:BYTE_0
	v_sub_u16_e32 v53, v11, v14
	v_lshlrev_b32_sdwa v11, v9, v53 dst_sel:DWORD dst_unused:UNUSED_PAD src0_sel:DWORD src1_sel:BYTE_0
	global_load_dwordx4 v[26:29], v10, s[10:11]
	global_load_dwordx4 v[16:19], v11, s[10:11]
	v_add_u16_e32 v10, 0x88, v20
	v_mul_lo_u16_sdwa v11, v10, s8 dst_sel:DWORD dst_unused:UNUSED_PAD src0_sel:BYTE_0 src1_sel:DWORD
	v_lshrrev_b16_e32 v54, 12, v11
	v_mul_lo_u16_e32 v11, 17, v54
	s_mov_b32 s8, 0xf0f1
	v_sub_u16_e32 v55, v10, v11
	v_mul_u32_u24_sdwa v10, v4, s8 dst_sel:DWORD dst_unused:UNUSED_PAD src0_sel:WORD_0 src1_sel:DWORD
	v_lshrrev_b32_e32 v56, 20, v10
	v_mul_lo_u16_e32 v10, 17, v56
	v_sub_u16_e32 v57, v4, v10
	v_lshlrev_b32_sdwa v9, v9, v55 dst_sel:DWORD dst_unused:UNUSED_PAD src0_sel:DWORD src1_sel:BYTE_0
	v_lshlrev_b32_e32 v4, 4, v57
	global_load_dwordx4 v[36:39], v9, s[10:11]
	global_load_dwordx4 v[32:35], v4, s[10:11]
	v_mul_u32_u24_sdwa v4, v5, s8 dst_sel:DWORD dst_unused:UNUSED_PAD src0_sel:WORD_0 src1_sel:DWORD
	v_lshrrev_b32_e32 v58, 20, v4
	v_mul_lo_u16_e32 v4, 17, v58
	v_sub_u16_e32 v59, v5, v4
	v_mul_u32_u24_sdwa v5, v6, s8 dst_sel:DWORD dst_unused:UNUSED_PAD src0_sel:WORD_0 src1_sel:DWORD
	v_lshrrev_b32_e32 v60, 20, v5
	v_mul_lo_u16_e32 v5, 17, v60
	v_lshlrev_b32_e32 v4, 4, v59
	v_sub_u16_e32 v61, v6, v5
	v_lshlrev_b32_e32 v5, 4, v61
	global_load_dwordx4 v[88:91], v4, s[10:11]
	global_load_dwordx4 v[40:43], v5, s[10:11]
	v_mul_u32_u24_sdwa v4, v7, s8 dst_sel:DWORD dst_unused:UNUSED_PAD src0_sel:WORD_0 src1_sel:DWORD
	v_lshrrev_b32_e32 v62, 20, v4
	v_mul_u32_u24_sdwa v5, v8, s8 dst_sel:DWORD dst_unused:UNUSED_PAD src0_sel:WORD_0 src1_sel:DWORD
	v_mul_lo_u16_e32 v4, 17, v62
	v_lshrrev_b32_e32 v64, 20, v5
	v_sub_u16_e32 v63, v7, v4
	v_mul_lo_u16_e32 v5, 17, v64
	v_lshlrev_b32_e32 v4, 4, v63
	v_sub_u16_e32 v65, v8, v5
	global_load_dwordx4 v[96:99], v4, s[10:11]
	v_lshlrev_b32_e32 v4, 4, v65
	global_load_dwordx4 v[92:95], v4, s[10:11]
	v_mul_u32_u24_sdwa v4, v12, s8 dst_sel:DWORD dst_unused:UNUSED_PAD src0_sel:WORD_0 src1_sel:DWORD
	v_lshrrev_b32_e32 v66, 20, v4
	v_mul_lo_u16_e32 v4, 17, v66
	v_sub_u16_e32 v67, v12, v4
	v_lshlrev_b32_e32 v4, 4, v67
	global_load_dwordx4 v[100:103], v4, s[10:11]
	s_waitcnt lgkmcnt(0)
	s_barrier
	v_addc_co_u32_e64 v13, s[14:15], 0, 0, vcc
	s_waitcnt vmcnt(8)
	v_accvgpr_write_b32 a77, v29
	s_waitcnt vmcnt(7)
	v_accvgpr_write_b32 a73, v19
	v_mul_f64 v[8:9], v[162:163], v[18:19]
	v_mul_f64 v[10:11], v[160:161], v[18:19]
	v_accvgpr_write_b32 a72, v18
	v_accvgpr_write_b32 a71, v17
	v_accvgpr_write_b32 a70, v16
	v_mul_f64 v[4:5], v[166:167], v[28:29]
	v_mul_f64 v[6:7], v[164:165], v[28:29]
	v_accvgpr_write_b32 a76, v28
	v_accvgpr_write_b32 a75, v27
	v_accvgpr_write_b32 a74, v26
	v_fma_f64 v[4:5], v[164:165], v[26:27], -v[4:5]
	s_waitcnt vmcnt(6)
	v_mul_f64 v[14:15], v[170:171], v[38:39]
	v_fma_f64 v[18:19], v[168:169], v[36:37], -v[14:15]
	s_waitcnt vmcnt(5)
	v_mul_f64 v[14:15], v[154:155], v[34:35]
	v_fma_f64 v[28:29], v[152:153], v[32:33], -v[14:15]
	v_mul_f64 v[30:31], v[152:153], v[34:35]
	v_accvgpr_write_b32 a81, v35
	v_fmac_f64_e32 v[6:7], v[166:167], v[26:27]
	v_fma_f64 v[8:9], v[160:161], v[16:17], -v[8:9]
	v_mul_f64 v[26:27], v[168:169], v[38:39]
	v_accvgpr_write_b32 a85, v39
	v_accvgpr_write_b32 a80, v34
	s_waitcnt vmcnt(4)
	v_mul_f64 v[14:15], v[158:159], v[90:91]
	v_accvgpr_write_b32 a79, v33
	v_accvgpr_write_b32 a78, v32
	v_fmac_f64_e32 v[30:31], v[154:155], v[32:33]
	v_fma_f64 v[32:33], v[156:157], v[88:89], -v[14:15]
	s_waitcnt vmcnt(3)
	v_mul_f64 v[14:15], v[2:3], v[42:43]
	v_accvgpr_write_b32 a84, v38
	v_accvgpr_write_b32 a83, v37
	;; [unrolled: 1-line block ×3, first 2 shown]
	v_fmac_f64_e32 v[26:27], v[170:171], v[36:37]
	v_fma_f64 v[36:37], v[0:1], v[40:41], -v[14:15]
	v_mul_f64 v[38:39], v[0:1], v[42:43]
	v_accvgpr_write_b32 a89, v43
	s_waitcnt vmcnt(2)
	v_mul_f64 v[0:1], v[146:147], v[98:99]
	v_add_f64 v[8:9], v[132:133], -v[8:9]
	v_accvgpr_write_b32 a88, v42
	v_accvgpr_write_b32 a87, v41
	;; [unrolled: 1-line block ×3, first 2 shown]
	v_fmac_f64_e32 v[38:39], v[2:3], v[40:41]
	v_fma_f64 v[40:41], v[144:145], v[96:97], -v[0:1]
	s_waitcnt vmcnt(1)
	v_mul_f64 v[0:1], v[142:143], v[94:95]
	v_fma_f64 v[14:15], v[132:133], 2.0, -v[8:9]
	v_add_f64 v[132:133], v[128:129], -v[18:19]
	v_mad_legacy_u16 v18, v22, 34, v23
	v_fma_f64 v[44:45], v[140:141], v[92:93], -v[0:1]
	s_waitcnt vmcnt(0)
	v_mul_f64 v[0:1], v[150:151], v[102:103]
	v_and_b32_e32 v18, 0xff, v18
	v_mov_b32_e32 v19, v255
	v_fma_f64 v[48:49], v[148:149], v[100:101], -v[0:1]
	v_add_f64 v[0:1], v[136:137], -v[4:5]
	v_add_f64 v[2:3], v[138:139], -v[6:7]
	v_lshl_add_u32 v18, v18, 4, v19
	v_fmac_f64_e32 v[10:11], v[162:163], v[16:17]
	v_fma_f64 v[4:5], v[136:137], 2.0, -v[0:1]
	ds_write_b128 v18, v[0:3] offset:272
	v_mul_u32_u24_e32 v0, 34, v52
	v_add_f64 v[10:11], v[134:135], -v[10:11]
	v_add_u32_sdwa v0, v0, v53 dst_sel:DWORD dst_unused:UNUSED_PAD src0_sel:DWORD src1_sel:BYTE_0
	v_fma_f64 v[6:7], v[138:139], 2.0, -v[2:3]
	v_fma_f64 v[16:17], v[134:135], 2.0, -v[10:11]
	v_lshl_add_u32 v0, v0, 4, v19
	ds_write_b128 v18, v[4:7]
	ds_write_b128 v0, v[14:17]
	v_accvgpr_write_b32 a90, v0
	ds_write_b128 v0, v[8:11] offset:272
	v_mul_u32_u24_e32 v0, 34, v54
	v_add_f64 v[134:135], v[130:131], -v[26:27]
	v_add_u32_sdwa v0, v0, v55 dst_sel:DWORD dst_unused:UNUSED_PAD src0_sel:DWORD src1_sel:BYTE_0
	v_fma_f64 v[128:129], v[128:129], 2.0, -v[132:133]
	v_fma_f64 v[130:131], v[130:131], 2.0, -v[134:135]
	v_lshl_add_u32 v0, v0, 4, v19
	v_mul_f64 v[34:35], v[156:157], v[90:91]
	v_add_f64 v[136:137], v[124:125], -v[28:29]
	v_add_f64 v[138:139], v[126:127], -v[30:31]
	ds_write_b128 v0, v[128:131]
	v_accvgpr_write_b32 a91, v0
	ds_write_b128 v0, v[132:135] offset:272
	v_mad_legacy_u16 v0, v56, 34, v57
	v_fmac_f64_e32 v[34:35], v[158:159], v[88:89]
	v_mul_f64 v[46:47], v[140:141], v[94:95]
	v_fma_f64 v[124:125], v[124:125], 2.0, -v[136:137]
	v_fma_f64 v[126:127], v[126:127], 2.0, -v[138:139]
	v_lshl_add_u32 v0, v0, 4, v19
	v_fmac_f64_e32 v[46:47], v[142:143], v[92:93]
	v_add_f64 v[140:141], v[120:121], -v[32:33]
	v_add_f64 v[142:143], v[122:123], -v[34:35]
	ds_write_b128 v0, v[124:127]
	v_accvgpr_write_b32 a92, v0
	ds_write_b128 v0, v[136:139] offset:272
	v_mad_legacy_u16 v0, v58, 34, v59
	v_mul_f64 v[42:43], v[144:145], v[98:99]
	v_fma_f64 v[120:121], v[120:121], 2.0, -v[140:141]
	v_fma_f64 v[122:123], v[122:123], 2.0, -v[142:143]
	v_lshl_add_u32 v0, v0, 4, v19
	v_fmac_f64_e32 v[42:43], v[146:147], v[96:97]
	v_add_f64 v[144:145], v[116:117], -v[36:37]
	v_add_f64 v[146:147], v[118:119], -v[38:39]
	ds_write_b128 v0, v[120:123]
	v_accvgpr_write_b32 a93, v0
	ds_write_b128 v0, v[140:143] offset:272
	v_mad_legacy_u16 v0, v60, 34, v61
	;; [unrolled: 11-line block ×3, first 2 shown]
	v_fma_f64 v[112:113], v[112:113], 2.0, -v[148:149]
	v_fma_f64 v[114:115], v[114:115], 2.0, -v[150:151]
	v_lshl_add_u32 v0, v0, 4, v19
	v_add_f64 v[152:153], v[108:109], -v[44:45]
	v_add_f64 v[154:155], v[110:111], -v[46:47]
	ds_write_b128 v0, v[112:115]
	v_accvgpr_write_b32 a96, v0
	ds_write_b128 v0, v[148:151] offset:272
	v_mad_legacy_u16 v0, v64, 34, v65
	v_fma_f64 v[108:109], v[108:109], 2.0, -v[152:153]
	v_fma_f64 v[110:111], v[110:111], 2.0, -v[154:155]
	v_lshl_add_u32 v0, v0, 4, v19
	ds_write_b128 v0, v[108:111]
	v_accvgpr_write_b32 a97, v0
	ds_write_b128 v0, v[152:155] offset:272
	v_mad_legacy_u16 v0, v66, 34, v67
	v_add_f64 v[204:205], v[104:105], -v[48:49]
	v_add_f64 v[206:207], v[106:107], -v[50:51]
	v_accvgpr_write_b32 a1, v18
	v_accvgpr_write_b32 a94, v0
	s_and_saveexec_b64 s[14:15], s[0:1]
	s_cbranch_execz .LBB0_5
; %bb.4:
	v_accvgpr_read_b32 v4, a94
	v_fma_f64 v[2:3], v[106:107], 2.0, -v[206:207]
	v_fma_f64 v[0:1], v[104:105], 2.0, -v[204:205]
	v_lshl_add_u32 v4, v4, 4, v19
	ds_write_b128 v4, v[0:3]
	ds_write_b128 v4, v[204:207] offset:272
.LBB0_5:
	s_or_b64 exec, exec, s[14:15]
	s_movk_i32 s8, 0xffde
	v_add_co_u32_e32 v14, vcc, s8, v20
	v_addc_co_u32_e64 v15, s[14:15], 0, -1, vcc
	v_cndmask_b32_e64 v5, v15, 0, s[0:1]
	v_cndmask_b32_e64 v4, v14, v20, s[0:1]
	v_lshlrev_b64 v[0:1], 8, v[4:5]
	v_mov_b32_e32 v2, s11
	v_add_co_u32_e32 v0, vcc, s10, v0
	v_addc_co_u32_e32 v1, vcc, v2, v1, vcc
	s_waitcnt lgkmcnt(0)
	s_barrier
	global_load_dwordx4 v[116:119], v[0:1], off offset:272
	global_load_dwordx4 v[112:115], v[0:1], off offset:288
	;; [unrolled: 1-line block ×16, first 2 shown]
	ds_read_b128 v[0:3], v21
	ds_read_b128 v[168:171], v21 offset:1088
	ds_read_b128 v[172:175], v21 offset:2176
	;; [unrolled: 1-line block ×16, first 2 shown]
	s_mov_b32 s36, 0x4363dd80
	s_mov_b32 s30, 0x5d8e7cdc
	;; [unrolled: 1-line block ×44, first 2 shown]
	v_mov_b32_e32 v5, 0x242
	v_cmp_lt_u16_e32 vcc, 33, v20
	v_cndmask_b32_e32 v5, 0, v5, vcc
	v_add_u32_e32 v4, v4, v5
	s_waitcnt lgkmcnt(0)
	s_barrier
	s_waitcnt vmcnt(15)
	v_mul_f64 v[30:31], v[168:169], v[118:119]
	v_mul_f64 v[10:11], v[170:171], v[118:119]
	s_waitcnt vmcnt(14)
	v_mul_f64 v[210:211], v[172:173], v[114:115]
	s_waitcnt vmcnt(12)
	;; [unrolled: 2-line block ×3, first 2 shown]
	v_mul_f64 v[36:37], v[202:203], v[134:135]
	v_mul_f64 v[32:33], v[182:183], v[110:111]
	;; [unrolled: 1-line block ×3, first 2 shown]
	s_waitcnt vmcnt(10)
	v_mul_f64 v[38:39], v[214:215], v[130:131]
	v_fmac_f64_e32 v[30:31], v[170:171], v[116:117]
	v_fma_f64 v[196:197], v[188:189], v[104:105], -v[34:35]
	v_fma_f64 v[188:189], v[200:201], v[132:133], -v[36:37]
	v_mul_f64 v[16:17], v[174:175], v[114:115]
	v_mul_f64 v[198:199], v[180:181], v[110:111]
	v_fma_f64 v[48:49], v[168:169], v[116:117], -v[10:11]
	v_fmac_f64_e32 v[210:211], v[174:175], v[112:113]
	s_waitcnt vmcnt(0)
	v_mul_f64 v[36:37], v[28:29], v[154:155]
	v_fma_f64 v[208:209], v[180:181], v[108:109], -v[32:33]
	v_fma_f64 v[180:181], v[212:213], v[128:129], -v[38:39]
	;; [unrolled: 1-line block ×3, first 2 shown]
	v_mul_f64 v[26:27], v[26:27], v[154:155]
	v_add_f64 v[38:39], v[2:3], v[30:31]
	v_fma_f64 v[216:217], v[172:173], v[112:113], -v[16:17]
	v_fmac_f64_e32 v[198:199], v[182:183], v[108:109]
	v_fmac_f64_e32 v[26:27], v[28:29], v[152:153]
	v_add_f64 v[28:29], v[0:1], v[48:49]
	v_add_f64 v[38:39], v[38:39], v[210:211]
	v_mul_f64 v[186:187], v[200:201], v[134:135]
	v_fmac_f64_e32 v[194:195], v[190:191], v[104:105]
	v_add_f64 v[28:29], v[28:29], v[216:217]
	v_add_f64 v[38:39], v[38:39], v[198:199]
	v_mul_f64 v[178:179], v[212:213], v[130:131]
	;; [unrolled: 4-line block ×4, first 2 shown]
	v_mul_f64 v[6:7], v[222:223], v[122:123]
	v_fmac_f64_e32 v[18:19], v[220:221], v[124:125]
	v_add_f64 v[28:29], v[28:29], v[188:189]
	v_add_f64 v[38:39], v[38:39], v[178:179]
	v_mul_f64 v[42:43], v[224:225], v[122:123]
	v_mul_f64 v[8:9], v[226:227], v[150:151]
	v_fma_f64 v[172:173], v[218:219], v[124:125], -v[40:41]
	v_fmac_f64_e32 v[6:7], v[224:225], v[120:121]
	v_add_f64 v[28:29], v[28:29], v[180:181]
	v_add_f64 v[38:39], v[38:39], v[18:19]
	v_mul_f64 v[44:45], v[228:229], v[150:151]
	v_fma_f64 v[10:11], v[222:223], v[120:121], -v[42:43]
	v_fmac_f64_e32 v[8:9], v[228:229], v[148:149]
	v_mul_f64 v[176:177], v[230:231], v[146:147]
	v_add_f64 v[28:29], v[28:29], v[172:173]
	v_add_f64 v[38:39], v[38:39], v[6:7]
	v_mul_f64 v[46:47], v[232:233], v[146:147]
	v_fma_f64 v[16:17], v[226:227], v[148:149], -v[44:45]
	v_fmac_f64_e32 v[176:177], v[232:233], v[144:145]
	v_mul_f64 v[184:185], v[234:235], v[142:143]
	v_add_f64 v[28:29], v[28:29], v[10:11]
	v_add_f64 v[38:39], v[38:39], v[8:9]
	v_fma_f64 v[174:175], v[230:231], v[144:145], -v[46:47]
	v_mul_f64 v[32:33], v[236:237], v[142:143]
	v_fmac_f64_e32 v[184:185], v[236:237], v[140:141]
	v_mul_f64 v[192:193], v[238:239], v[138:139]
	v_add_f64 v[28:29], v[28:29], v[16:17]
	v_add_f64 v[38:39], v[38:39], v[176:177]
	v_fma_f64 v[182:183], v[234:235], v[140:141], -v[32:33]
	v_mul_f64 v[32:33], v[240:241], v[138:139]
	;; [unrolled: 6-line block ×5, first 2 shown]
	v_fmac_f64_e32 v[34:35], v[252:253], v[156:157]
	v_add_f64 v[28:29], v[28:29], v[200:201]
	v_add_f64 v[38:39], v[38:39], v[214:215]
	v_fma_f64 v[32:33], v[250:251], v[156:157], -v[32:33]
	v_add_f64 v[28:29], v[28:29], v[212:213]
	v_add_f64 v[38:39], v[38:39], v[34:35]
	;; [unrolled: 1-line block ×5, first 2 shown]
	v_add_f64 v[26:27], v[30:31], -v[26:27]
	v_add_f64 v[168:169], v[28:29], v[36:37]
	v_add_f64 v[28:29], v[48:49], v[36:37]
	v_add_f64 v[36:37], v[48:49], -v[36:37]
	v_mul_f64 v[248:249], v[26:27], s[36:37]
	v_mul_f64 v[30:31], v[26:27], s[30:31]
	;; [unrolled: 1-line block ×7, first 2 shown]
	v_fma_f64 v[250:251], v[28:29], s[34:35], -v[248:249]
	v_mul_f64 v[252:253], v[36:37], s[36:37]
	v_fmac_f64_e32 v[248:249], s[34:35], v[28:29]
	v_mul_f64 v[26:27], v[26:27], s[42:43]
	v_fma_f64 v[40:41], v[28:29], s[24:25], -v[30:31]
	v_mul_f64 v[42:43], v[36:37], s[30:31]
	v_fmac_f64_e32 v[30:31], s[24:25], v[28:29]
	v_fma_f64 v[48:49], v[28:29], s[18:19], -v[46:47]
	v_mul_f64 v[50:51], v[36:37], s[46:47]
	v_fmac_f64_e32 v[46:47], s[18:19], v[28:29]
	;; [unrolled: 3-line block ×6, first 2 shown]
	v_fma_f64 v[56:57], s[34:35], v[38:39], v[252:253]
	v_add_f64 v[58:59], v[0:1], v[248:249]
	v_fma_f64 v[248:249], v[38:39], s[34:35], -v[252:253]
	v_fma_f64 v[252:253], v[28:29], s[40:41], -v[26:27]
	v_mul_f64 v[36:37], v[36:37], s[42:43]
	v_fmac_f64_e32 v[26:27], s[40:41], v[28:29]
	v_add_f64 v[40:41], v[0:1], v[40:41]
	v_fma_f64 v[44:45], s[24:25], v[38:39], v[42:43]
	v_add_f64 v[30:31], v[0:1], v[30:31]
	v_fma_f64 v[42:43], v[38:39], s[24:25], -v[42:43]
	v_add_f64 v[48:49], v[0:1], v[48:49]
	v_fma_f64 v[52:53], s[18:19], v[38:39], v[50:51]
	v_add_f64 v[46:47], v[0:1], v[46:47]
	v_fma_f64 v[50:51], v[38:39], s[18:19], -v[50:51]
	;; [unrolled: 4-line block ×6, first 2 shown]
	v_add_f64 v[250:251], v[0:1], v[250:251]
	v_add_f64 v[252:253], v[0:1], v[252:253]
	v_fma_f64 v[60:61], s[40:41], v[38:39], v[36:37]
	v_add_f64 v[0:1], v[0:1], v[26:27]
	v_fma_f64 v[26:27], v[38:39], s[40:41], -v[36:37]
	v_add_f64 v[28:29], v[210:211], v[34:35]
	v_add_f64 v[34:35], v[210:211], -v[34:35]
	v_add_f64 v[44:45], v[2:3], v[44:45]
	v_add_f64 v[42:43], v[2:3], v[42:43]
	;; [unrolled: 1-line block ×17, first 2 shown]
	v_mul_f64 v[36:37], v[34:35], s[46:47]
	v_add_f64 v[32:33], v[216:217], -v[32:33]
	v_fma_f64 v[38:39], v[26:27], s[18:19], -v[36:37]
	v_add_f64 v[38:39], v[38:39], v[40:41]
	v_mul_f64 v[40:41], v[32:33], s[46:47]
	v_fmac_f64_e32 v[36:37], s[18:19], v[26:27]
	v_fma_f64 v[62:63], s[18:19], v[28:29], v[40:41]
	v_add_f64 v[30:31], v[36:37], v[30:31]
	v_fma_f64 v[36:37], v[28:29], s[18:19], -v[40:41]
	v_mul_f64 v[40:41], v[34:35], s[38:39]
	v_add_f64 v[36:37], v[36:37], v[42:43]
	v_fma_f64 v[42:43], v[26:27], s[14:15], -v[40:41]
	v_add_f64 v[42:43], v[42:43], v[48:49]
	v_mul_f64 v[48:49], v[32:33], s[38:39]
	v_fmac_f64_e32 v[40:41], s[14:15], v[26:27]
	v_add_f64 v[44:45], v[62:63], v[44:45]
	v_fma_f64 v[62:63], s[14:15], v[28:29], v[48:49]
	v_add_f64 v[40:41], v[40:41], v[46:47]
	v_fma_f64 v[46:47], v[28:29], s[14:15], -v[48:49]
	v_mul_f64 v[48:49], v[34:35], s[28:29]
	v_add_f64 v[52:53], v[62:63], v[52:53]
	v_add_f64 v[46:47], v[46:47], v[50:51]
	v_fma_f64 v[50:51], v[26:27], s[26:27], -v[48:49]
	v_mul_f64 v[62:63], v[32:33], s[28:29]
	v_fmac_f64_e32 v[48:49], s[26:27], v[26:27]
	v_fma_f64 v[210:211], s[26:27], v[28:29], v[62:63]
	v_add_f64 v[48:49], v[48:49], v[54:55]
	v_fma_f64 v[54:55], v[28:29], s[26:27], -v[62:63]
	v_mul_f64 v[62:63], v[34:35], s[42:43]
	v_add_f64 v[50:51], v[50:51], v[218:219]
	v_fma_f64 v[216:217], v[26:27], s[40:41], -v[62:63]
	v_mul_f64 v[218:219], v[32:33], s[42:43]
	v_add_f64 v[210:211], v[210:211], v[222:223]
	v_add_f64 v[54:55], v[54:55], v[220:221]
	;; [unrolled: 1-line block ×3, first 2 shown]
	v_fma_f64 v[220:221], s[40:41], v[28:29], v[218:219]
	v_fmac_f64_e32 v[62:63], s[40:41], v[26:27]
	v_fma_f64 v[218:219], v[28:29], s[40:41], -v[218:219]
	v_mul_f64 v[222:223], v[34:35], s[56:57]
	v_mul_f64 v[226:227], v[32:33], s[56:57]
	v_add_f64 v[220:221], v[220:221], v[230:231]
	v_add_f64 v[62:63], v[62:63], v[224:225]
	;; [unrolled: 1-line block ×3, first 2 shown]
	v_fma_f64 v[224:225], v[26:27], s[34:35], -v[222:223]
	v_fma_f64 v[228:229], s[34:35], v[28:29], v[226:227]
	v_fmac_f64_e32 v[222:223], s[34:35], v[26:27]
	v_mul_f64 v[230:231], v[34:35], s[54:55]
	v_add_f64 v[224:225], v[224:225], v[234:235]
	v_add_f64 v[228:229], v[228:229], v[238:239]
	;; [unrolled: 1-line block ×3, first 2 shown]
	v_fma_f64 v[226:227], v[28:29], s[34:35], -v[226:227]
	v_fma_f64 v[232:233], v[26:27], s[20:21], -v[230:231]
	v_mul_f64 v[234:235], v[32:33], s[54:55]
	v_fmac_f64_e32 v[230:231], s[20:21], v[26:27]
	v_mul_f64 v[238:239], v[34:35], s[44:45]
	v_add_f64 v[226:227], v[226:227], v[236:237]
	v_add_f64 v[232:233], v[232:233], v[242:243]
	v_fma_f64 v[236:237], s[20:21], v[28:29], v[234:235]
	v_add_f64 v[230:231], v[230:231], v[240:241]
	v_fma_f64 v[234:235], v[28:29], s[20:21], -v[234:235]
	v_fma_f64 v[240:241], v[26:27], s[16:17], -v[238:239]
	v_mul_f64 v[242:243], v[32:33], s[44:45]
	v_fmac_f64_e32 v[238:239], s[16:17], v[26:27]
	v_mul_f64 v[34:35], v[34:35], s[48:49]
	v_add_f64 v[234:235], v[234:235], v[244:245]
	v_fma_f64 v[244:245], s[16:17], v[28:29], v[242:243]
	v_add_f64 v[58:59], v[238:239], v[58:59]
	v_fma_f64 v[238:239], v[28:29], s[16:17], -v[242:243]
	v_fma_f64 v[242:243], v[26:27], s[24:25], -v[34:35]
	v_mul_f64 v[32:33], v[32:33], s[48:49]
	v_fmac_f64_e32 v[34:35], s[24:25], v[26:27]
	v_add_f64 v[0:1], v[34:35], v[0:1]
	v_fma_f64 v[26:27], v[28:29], s[24:25], -v[32:33]
	v_add_f64 v[34:35], v[198:199], -v[214:215]
	v_add_f64 v[56:57], v[244:245], v[56:57]
	v_fma_f64 v[244:245], s[24:25], v[28:29], v[32:33]
	v_add_f64 v[2:3], v[26:27], v[2:3]
	v_add_f64 v[26:27], v[208:209], v[212:213]
	;; [unrolled: 1-line block ×3, first 2 shown]
	v_mul_f64 v[198:199], v[34:35], s[52:53]
	v_add_f64 v[32:33], v[208:209], -v[212:213]
	v_fma_f64 v[208:209], v[26:27], s[16:17], -v[198:199]
	v_add_f64 v[38:39], v[208:209], v[38:39]
	v_mul_f64 v[208:209], v[32:33], s[52:53]
	v_fmac_f64_e32 v[198:199], s[16:17], v[26:27]
	v_add_f64 v[30:31], v[198:199], v[30:31]
	v_fma_f64 v[198:199], v[28:29], s[16:17], -v[208:209]
	v_add_f64 v[36:37], v[198:199], v[36:37]
	v_mul_f64 v[198:199], v[34:35], s[28:29]
	v_fma_f64 v[212:213], s[16:17], v[28:29], v[208:209]
	v_fma_f64 v[208:209], v[26:27], s[26:27], -v[198:199]
	v_add_f64 v[42:43], v[208:209], v[42:43]
	v_mul_f64 v[208:209], v[32:33], s[28:29]
	v_fmac_f64_e32 v[198:199], s[26:27], v[26:27]
	v_add_f64 v[40:41], v[198:199], v[40:41]
	v_fma_f64 v[198:199], v[28:29], s[26:27], -v[208:209]
	v_add_f64 v[46:47], v[198:199], v[46:47]
	v_mul_f64 v[198:199], v[34:35], s[50:51]
	v_add_f64 v[44:45], v[212:213], v[44:45]
	v_fma_f64 v[212:213], s[26:27], v[28:29], v[208:209]
	v_fma_f64 v[208:209], v[26:27], s[40:41], -v[198:199]
	v_add_f64 v[50:51], v[208:209], v[50:51]
	v_mul_f64 v[208:209], v[32:33], s[50:51]
	v_fmac_f64_e32 v[198:199], s[40:41], v[26:27]
	v_add_f64 v[48:49], v[198:199], v[48:49]
	v_fma_f64 v[198:199], v[28:29], s[40:41], -v[208:209]
	v_add_f64 v[52:53], v[212:213], v[52:53]
	v_fma_f64 v[212:213], s[40:41], v[28:29], v[208:209]
	v_add_f64 v[54:55], v[198:199], v[54:55]
	v_mul_f64 v[198:199], v[34:35], s[54:55]
	v_add_f64 v[210:211], v[212:213], v[210:211]
	v_fma_f64 v[208:209], v[26:27], s[20:21], -v[198:199]
	v_mul_f64 v[212:213], v[32:33], s[54:55]
	v_fmac_f64_e32 v[198:199], s[20:21], v[26:27]
	s_mov_b32 s51, 0x3fe58eea
	s_mov_b32 s50, s46
	v_fma_f64 v[214:215], s[20:21], v[28:29], v[212:213]
	v_add_f64 v[62:63], v[198:199], v[62:63]
	v_fma_f64 v[198:199], v[28:29], s[20:21], -v[212:213]
	v_mul_f64 v[212:213], v[34:35], s[50:51]
	v_add_f64 v[208:209], v[208:209], v[216:217]
	v_add_f64 v[198:199], v[198:199], v[218:219]
	v_fma_f64 v[216:217], v[26:27], s[18:19], -v[212:213]
	v_mul_f64 v[218:219], v[32:33], s[50:51]
	v_fmac_f64_e32 v[212:213], s[18:19], v[26:27]
	v_add_f64 v[214:215], v[214:215], v[220:221]
	v_fma_f64 v[220:221], s[18:19], v[28:29], v[218:219]
	v_add_f64 v[212:213], v[212:213], v[222:223]
	v_fma_f64 v[218:219], v[28:29], s[18:19], -v[218:219]
	v_mul_f64 v[222:223], v[34:35], s[30:31]
	v_add_f64 v[216:217], v[216:217], v[224:225]
	v_add_f64 v[218:219], v[218:219], v[226:227]
	v_fma_f64 v[224:225], v[26:27], s[24:25], -v[222:223]
	v_mul_f64 v[226:227], v[32:33], s[30:31]
	v_fmac_f64_e32 v[222:223], s[24:25], v[26:27]
	v_add_f64 v[220:221], v[220:221], v[228:229]
	v_fma_f64 v[228:229], s[24:25], v[28:29], v[226:227]
	v_add_f64 v[222:223], v[222:223], v[230:231]
	v_fma_f64 v[226:227], v[28:29], s[24:25], -v[226:227]
	v_mul_f64 v[230:231], v[34:35], s[38:39]
	v_add_f64 v[236:237], v[236:237], v[246:247]
	v_add_f64 v[224:225], v[224:225], v[232:233]
	;; [unrolled: 1-line block ×3, first 2 shown]
	v_fma_f64 v[232:233], v[26:27], s[14:15], -v[230:231]
	v_mul_f64 v[234:235], v[32:33], s[38:39]
	v_fmac_f64_e32 v[230:231], s[14:15], v[26:27]
	v_mul_f64 v[34:35], v[34:35], s[36:37]
	v_add_f64 v[228:229], v[228:229], v[236:237]
	v_fma_f64 v[236:237], s[14:15], v[28:29], v[234:235]
	v_add_f64 v[58:59], v[230:231], v[58:59]
	v_fma_f64 v[230:231], v[28:29], s[14:15], -v[234:235]
	v_fma_f64 v[234:235], v[26:27], s[34:35], -v[34:35]
	v_mul_f64 v[32:33], v[32:33], s[36:37]
	v_fmac_f64_e32 v[34:35], s[34:35], v[26:27]
	v_add_f64 v[0:1], v[34:35], v[0:1]
	v_fma_f64 v[26:27], v[28:29], s[34:35], -v[32:33]
	v_add_f64 v[34:35], v[194:195], -v[202:203]
	v_add_f64 v[56:57], v[236:237], v[56:57]
	v_fma_f64 v[236:237], s[34:35], v[28:29], v[32:33]
	v_add_f64 v[2:3], v[26:27], v[2:3]
	v_add_f64 v[26:27], v[196:197], v[200:201]
	;; [unrolled: 1-line block ×3, first 2 shown]
	v_mul_f64 v[194:195], v[34:35], s[38:39]
	v_add_f64 v[32:33], v[196:197], -v[200:201]
	v_fma_f64 v[196:197], v[26:27], s[14:15], -v[194:195]
	v_add_f64 v[38:39], v[196:197], v[38:39]
	v_mul_f64 v[196:197], v[32:33], s[38:39]
	v_fmac_f64_e32 v[194:195], s[14:15], v[26:27]
	v_add_f64 v[30:31], v[194:195], v[30:31]
	v_fma_f64 v[194:195], v[28:29], s[14:15], -v[196:197]
	v_add_f64 v[36:37], v[194:195], v[36:37]
	v_mul_f64 v[194:195], v[34:35], s[42:43]
	v_fma_f64 v[200:201], s[14:15], v[28:29], v[196:197]
	v_fma_f64 v[196:197], v[26:27], s[40:41], -v[194:195]
	v_add_f64 v[42:43], v[196:197], v[42:43]
	v_mul_f64 v[196:197], v[32:33], s[42:43]
	v_fmac_f64_e32 v[194:195], s[40:41], v[26:27]
	v_add_f64 v[40:41], v[194:195], v[40:41]
	v_fma_f64 v[194:195], v[28:29], s[40:41], -v[196:197]
	v_add_f64 v[46:47], v[194:195], v[46:47]
	v_mul_f64 v[194:195], v[34:35], s[54:55]
	v_add_f64 v[44:45], v[200:201], v[44:45]
	v_fma_f64 v[200:201], s[40:41], v[28:29], v[196:197]
	v_fma_f64 v[196:197], v[26:27], s[20:21], -v[194:195]
	v_add_f64 v[50:51], v[196:197], v[50:51]
	v_mul_f64 v[196:197], v[32:33], s[54:55]
	v_fmac_f64_e32 v[194:195], s[20:21], v[26:27]
	v_add_f64 v[48:49], v[194:195], v[48:49]
	v_fma_f64 v[194:195], v[28:29], s[20:21], -v[196:197]
	v_add_f64 v[54:55], v[194:195], v[54:55]
	v_mul_f64 v[194:195], v[34:35], s[48:49]
	v_add_f64 v[52:53], v[200:201], v[52:53]
	v_fma_f64 v[200:201], s[20:21], v[28:29], v[196:197]
	v_fma_f64 v[196:197], v[26:27], s[24:25], -v[194:195]
	v_mul_f64 v[202:203], v[32:33], s[48:49]
	v_fmac_f64_e32 v[194:195], s[24:25], v[26:27]
	v_add_f64 v[62:63], v[194:195], v[62:63]
	v_fma_f64 v[194:195], v[28:29], s[24:25], -v[202:203]
	v_add_f64 v[194:195], v[194:195], v[198:199]
	v_mul_f64 v[198:199], v[34:35], s[52:53]
	v_add_f64 v[200:201], v[200:201], v[210:211]
	v_add_f64 v[196:197], v[196:197], v[208:209]
	v_fma_f64 v[208:209], s[24:25], v[28:29], v[202:203]
	v_fma_f64 v[202:203], v[26:27], s[16:17], -v[198:199]
	v_mul_f64 v[210:211], v[32:33], s[52:53]
	v_fmac_f64_e32 v[198:199], s[16:17], v[26:27]
	v_add_f64 v[208:209], v[208:209], v[214:215]
	v_fma_f64 v[214:215], s[16:17], v[28:29], v[210:211]
	v_add_f64 v[198:199], v[198:199], v[212:213]
	v_fma_f64 v[210:211], v[28:29], s[16:17], -v[210:211]
	v_mul_f64 v[212:213], v[34:35], s[36:37]
	v_add_f64 v[202:203], v[202:203], v[216:217]
	v_add_f64 v[210:211], v[210:211], v[218:219]
	v_fma_f64 v[216:217], v[26:27], s[34:35], -v[212:213]
	v_mul_f64 v[218:219], v[32:33], s[36:37]
	v_fmac_f64_e32 v[212:213], s[34:35], v[26:27]
	v_add_f64 v[214:215], v[214:215], v[220:221]
	v_fma_f64 v[220:221], s[34:35], v[28:29], v[218:219]
	v_add_f64 v[212:213], v[212:213], v[222:223]
	v_fma_f64 v[218:219], v[28:29], s[34:35], -v[218:219]
	v_mul_f64 v[222:223], v[34:35], s[58:59]
	v_add_f64 v[216:217], v[216:217], v[224:225]
	v_add_f64 v[218:219], v[218:219], v[226:227]
	v_fma_f64 v[224:225], v[26:27], s[26:27], -v[222:223]
	v_mul_f64 v[226:227], v[32:33], s[58:59]
	v_fmac_f64_e32 v[222:223], s[26:27], v[26:27]
	v_mul_f64 v[34:35], v[34:35], s[50:51]
	v_add_f64 v[220:221], v[220:221], v[228:229]
	v_fma_f64 v[228:229], s[26:27], v[28:29], v[226:227]
	v_add_f64 v[58:59], v[222:223], v[58:59]
	v_fma_f64 v[222:223], v[28:29], s[26:27], -v[226:227]
	v_fma_f64 v[226:227], v[26:27], s[18:19], -v[34:35]
	v_mul_f64 v[32:33], v[32:33], s[50:51]
	v_fmac_f64_e32 v[34:35], s[18:19], v[26:27]
	v_add_f64 v[0:1], v[34:35], v[0:1]
	v_fma_f64 v[26:27], v[28:29], s[18:19], -v[32:33]
	v_add_f64 v[34:35], v[186:187], -v[192:193]
	v_add_f64 v[56:57], v[228:229], v[56:57]
	v_fma_f64 v[228:229], s[18:19], v[28:29], v[32:33]
	v_add_f64 v[2:3], v[26:27], v[2:3]
	v_add_f64 v[26:27], v[188:189], v[190:191]
	v_add_f64 v[28:29], v[186:187], v[192:193]
	v_mul_f64 v[186:187], v[34:35], s[22:23]
	v_add_f64 v[32:33], v[188:189], -v[190:191]
	v_fma_f64 v[188:189], v[26:27], s[20:21], -v[186:187]
	v_add_f64 v[38:39], v[188:189], v[38:39]
	v_mul_f64 v[188:189], v[32:33], s[22:23]
	v_fmac_f64_e32 v[186:187], s[20:21], v[26:27]
	v_add_f64 v[30:31], v[186:187], v[30:31]
	v_fma_f64 v[186:187], v[28:29], s[20:21], -v[188:189]
	v_add_f64 v[36:37], v[186:187], v[36:37]
	v_mul_f64 v[186:187], v[34:35], s[56:57]
	v_fma_f64 v[190:191], s[20:21], v[28:29], v[188:189]
	v_fma_f64 v[188:189], v[26:27], s[34:35], -v[186:187]
	v_add_f64 v[42:43], v[188:189], v[42:43]
	v_mul_f64 v[188:189], v[32:33], s[56:57]
	v_fmac_f64_e32 v[186:187], s[34:35], v[26:27]
	v_add_f64 v[40:41], v[186:187], v[40:41]
	v_fma_f64 v[186:187], v[28:29], s[34:35], -v[188:189]
	v_add_f64 v[46:47], v[186:187], v[46:47]
	v_mul_f64 v[186:187], v[34:35], s[50:51]
	v_add_f64 v[44:45], v[190:191], v[44:45]
	v_fma_f64 v[190:191], s[34:35], v[28:29], v[188:189]
	v_fma_f64 v[188:189], v[26:27], s[18:19], -v[186:187]
	v_add_f64 v[50:51], v[188:189], v[50:51]
	v_mul_f64 v[188:189], v[32:33], s[50:51]
	v_fmac_f64_e32 v[186:187], s[18:19], v[26:27]
	v_add_f64 v[48:49], v[186:187], v[48:49]
	v_fma_f64 v[186:187], v[28:29], s[18:19], -v[188:189]
	v_add_f64 v[54:55], v[186:187], v[54:55]
	v_mul_f64 v[186:187], v[34:35], s[52:53]
	v_add_f64 v[52:53], v[190:191], v[52:53]
	v_fma_f64 v[190:191], s[18:19], v[28:29], v[188:189]
	v_fma_f64 v[188:189], v[26:27], s[16:17], -v[186:187]
	v_mul_f64 v[192:193], v[32:33], s[52:53]
	v_fmac_f64_e32 v[186:187], s[16:17], v[26:27]
	v_add_f64 v[188:189], v[188:189], v[196:197]
	v_fma_f64 v[196:197], s[16:17], v[28:29], v[192:193]
	v_add_f64 v[62:63], v[186:187], v[62:63]
	v_fma_f64 v[186:187], v[28:29], s[16:17], -v[192:193]
	v_mul_f64 v[192:193], v[34:35], s[42:43]
	v_add_f64 v[190:191], v[190:191], v[200:201]
	v_add_f64 v[186:187], v[186:187], v[194:195]
	v_fma_f64 v[194:195], v[26:27], s[40:41], -v[192:193]
	v_mul_f64 v[200:201], v[32:33], s[42:43]
	v_fmac_f64_e32 v[192:193], s[40:41], v[26:27]
	s_mov_b32 s53, 0x3fefdd0d
	s_mov_b32 s52, s38
	v_add_f64 v[194:195], v[194:195], v[202:203]
	v_fma_f64 v[202:203], s[40:41], v[28:29], v[200:201]
	v_add_f64 v[192:193], v[192:193], v[198:199]
	v_fma_f64 v[198:199], v[28:29], s[40:41], -v[200:201]
	v_mul_f64 v[200:201], v[34:35], s[52:53]
	v_add_f64 v[196:197], v[196:197], v[208:209]
	v_add_f64 v[198:199], v[198:199], v[210:211]
	v_fma_f64 v[208:209], v[26:27], s[14:15], -v[200:201]
	v_mul_f64 v[210:211], v[32:33], s[52:53]
	v_fmac_f64_e32 v[200:201], s[14:15], v[26:27]
	v_add_f64 v[202:203], v[202:203], v[214:215]
	v_fma_f64 v[214:215], s[14:15], v[28:29], v[210:211]
	v_add_f64 v[200:201], v[200:201], v[212:213]
	v_fma_f64 v[210:211], v[28:29], s[14:15], -v[210:211]
	v_mul_f64 v[212:213], v[34:35], s[30:31]
	v_add_f64 v[208:209], v[208:209], v[216:217]
	v_add_f64 v[210:211], v[210:211], v[218:219]
	v_fma_f64 v[216:217], v[26:27], s[24:25], -v[212:213]
	v_mul_f64 v[218:219], v[32:33], s[30:31]
	v_fmac_f64_e32 v[212:213], s[24:25], v[26:27]
	v_mul_f64 v[34:35], v[34:35], s[28:29]
	v_add_f64 v[214:215], v[214:215], v[220:221]
	v_fma_f64 v[220:221], s[24:25], v[28:29], v[218:219]
	v_add_f64 v[58:59], v[212:213], v[58:59]
	v_fma_f64 v[212:213], v[28:29], s[24:25], -v[218:219]
	v_fma_f64 v[218:219], v[26:27], s[26:27], -v[34:35]
	v_mul_f64 v[32:33], v[32:33], s[28:29]
	v_fmac_f64_e32 v[34:35], s[26:27], v[26:27]
	v_add_f64 v[0:1], v[34:35], v[0:1]
	v_fma_f64 v[26:27], v[28:29], s[26:27], -v[32:33]
	v_add_f64 v[34:35], v[178:179], -v[184:185]
	v_add_f64 v[56:57], v[220:221], v[56:57]
	v_fma_f64 v[220:221], s[26:27], v[28:29], v[32:33]
	v_add_f64 v[2:3], v[26:27], v[2:3]
	v_add_f64 v[26:27], v[180:181], v[182:183]
	;; [unrolled: 1-line block ×3, first 2 shown]
	v_mul_f64 v[178:179], v[34:35], s[28:29]
	v_add_f64 v[32:33], v[180:181], -v[182:183]
	v_fma_f64 v[180:181], v[26:27], s[26:27], -v[178:179]
	v_add_f64 v[38:39], v[180:181], v[38:39]
	v_mul_f64 v[180:181], v[32:33], s[28:29]
	v_fmac_f64_e32 v[178:179], s[26:27], v[26:27]
	v_add_f64 v[30:31], v[178:179], v[30:31]
	v_fma_f64 v[178:179], v[28:29], s[26:27], -v[180:181]
	v_add_f64 v[36:37], v[178:179], v[36:37]
	v_mul_f64 v[178:179], v[34:35], s[54:55]
	v_fma_f64 v[182:183], s[26:27], v[28:29], v[180:181]
	v_fma_f64 v[180:181], v[26:27], s[20:21], -v[178:179]
	v_add_f64 v[42:43], v[180:181], v[42:43]
	v_mul_f64 v[180:181], v[32:33], s[54:55]
	v_fmac_f64_e32 v[178:179], s[20:21], v[26:27]
	v_add_f64 v[40:41], v[178:179], v[40:41]
	v_fma_f64 v[178:179], v[28:29], s[20:21], -v[180:181]
	v_add_f64 v[46:47], v[178:179], v[46:47]
	v_mul_f64 v[178:179], v[34:35], s[30:31]
	v_add_f64 v[44:45], v[182:183], v[44:45]
	v_fma_f64 v[182:183], s[20:21], v[28:29], v[180:181]
	v_fma_f64 v[180:181], v[26:27], s[24:25], -v[178:179]
	v_add_f64 v[50:51], v[180:181], v[50:51]
	v_mul_f64 v[180:181], v[32:33], s[30:31]
	v_fmac_f64_e32 v[178:179], s[24:25], v[26:27]
	v_add_f64 v[48:49], v[178:179], v[48:49]
	v_fma_f64 v[178:179], v[28:29], s[24:25], -v[180:181]
	v_add_f64 v[54:55], v[178:179], v[54:55]
	v_mul_f64 v[178:179], v[34:35], s[36:37]
	v_add_f64 v[52:53], v[182:183], v[52:53]
	v_fma_f64 v[182:183], s[24:25], v[28:29], v[180:181]
	v_fma_f64 v[180:181], v[26:27], s[34:35], -v[178:179]
	v_mul_f64 v[184:185], v[32:33], s[36:37]
	v_fmac_f64_e32 v[178:179], s[34:35], v[26:27]
	v_add_f64 v[180:181], v[180:181], v[188:189]
	v_fma_f64 v[188:189], s[34:35], v[28:29], v[184:185]
	v_add_f64 v[62:63], v[178:179], v[62:63]
	v_fma_f64 v[178:179], v[28:29], s[34:35], -v[184:185]
	v_mul_f64 v[184:185], v[34:35], s[52:53]
	v_add_f64 v[182:183], v[182:183], v[190:191]
	v_add_f64 v[178:179], v[178:179], v[186:187]
	v_fma_f64 v[186:187], v[26:27], s[14:15], -v[184:185]
	v_mul_f64 v[190:191], v[32:33], s[52:53]
	v_fmac_f64_e32 v[184:185], s[14:15], v[26:27]
	v_add_f64 v[186:187], v[186:187], v[194:195]
	v_fma_f64 v[194:195], s[14:15], v[28:29], v[190:191]
	v_add_f64 v[184:185], v[184:185], v[192:193]
	v_fma_f64 v[190:191], v[28:29], s[14:15], -v[190:191]
	v_mul_f64 v[192:193], v[34:35], s[46:47]
	v_add_f64 v[238:239], v[238:239], v[248:249]
	v_add_f64 v[188:189], v[188:189], v[196:197]
	;; [unrolled: 1-line block ×3, first 2 shown]
	v_fma_f64 v[196:197], v[26:27], s[18:19], -v[192:193]
	v_mul_f64 v[198:199], v[32:33], s[46:47]
	v_fmac_f64_e32 v[192:193], s[18:19], v[26:27]
	v_add_f64 v[230:231], v[230:231], v[238:239]
	v_add_f64 v[194:195], v[194:195], v[202:203]
	v_fma_f64 v[202:203], s[18:19], v[28:29], v[198:199]
	v_add_f64 v[192:193], v[192:193], v[200:201]
	v_fma_f64 v[198:199], v[28:29], s[18:19], -v[198:199]
	v_mul_f64 v[200:201], v[34:35], s[42:43]
	v_add_f64 v[222:223], v[222:223], v[230:231]
	v_add_f64 v[196:197], v[196:197], v[208:209]
	;; [unrolled: 1-line block ×3, first 2 shown]
	v_fma_f64 v[208:209], v[26:27], s[40:41], -v[200:201]
	v_mul_f64 v[210:211], v[32:33], s[42:43]
	v_fmac_f64_e32 v[200:201], s[40:41], v[26:27]
	v_add_f64 v[212:213], v[212:213], v[222:223]
	v_add_f64 v[58:59], v[200:201], v[58:59]
	v_fma_f64 v[200:201], v[28:29], s[40:41], -v[210:211]
	v_mul_f64 v[34:35], v[34:35], s[44:45]
	v_mul_f64 v[32:33], v[32:33], s[44:45]
	v_add_f64 v[202:203], v[202:203], v[214:215]
	v_fma_f64 v[214:215], s[40:41], v[28:29], v[210:211]
	v_add_f64 v[200:201], v[200:201], v[212:213]
	v_fma_f64 v[210:211], v[26:27], s[16:17], -v[34:35]
	v_fma_f64 v[212:213], s[16:17], v[28:29], v[32:33]
	v_fmac_f64_e32 v[34:35], s[16:17], v[26:27]
	v_fma_f64 v[26:27], v[28:29], s[16:17], -v[32:33]
	v_add_f64 v[28:29], v[18:19], v[176:177]
	v_add_f64 v[18:19], v[18:19], -v[176:177]
	v_add_f64 v[0:1], v[34:35], v[0:1]
	v_add_f64 v[2:3], v[26:27], v[2:3]
	v_add_f64 v[26:27], v[172:173], v[174:175]
	v_mul_f64 v[34:35], v[18:19], s[36:37]
	v_add_f64 v[32:33], v[172:173], -v[174:175]
	v_fma_f64 v[172:173], v[26:27], s[34:35], -v[34:35]
	v_add_f64 v[38:39], v[172:173], v[38:39]
	v_mul_f64 v[172:173], v[32:33], s[36:37]
	v_fmac_f64_e32 v[34:35], s[34:35], v[26:27]
	v_add_f64 v[30:31], v[34:35], v[30:31]
	v_fma_f64 v[34:35], v[28:29], s[34:35], -v[172:173]
	v_add_f64 v[34:35], v[34:35], v[36:37]
	v_mul_f64 v[36:37], v[18:19], s[44:45]
	v_fma_f64 v[174:175], s[34:35], v[28:29], v[172:173]
	v_fma_f64 v[172:173], v[26:27], s[16:17], -v[36:37]
	v_add_f64 v[42:43], v[172:173], v[42:43]
	v_mul_f64 v[172:173], v[32:33], s[44:45]
	v_fmac_f64_e32 v[36:37], s[16:17], v[26:27]
	v_add_f64 v[36:37], v[36:37], v[40:41]
	v_fma_f64 v[40:41], v[28:29], s[16:17], -v[172:173]
	v_add_f64 v[40:41], v[40:41], v[46:47]
	v_mul_f64 v[46:47], v[18:19], s[38:39]
	v_add_f64 v[44:45], v[174:175], v[44:45]
	v_fma_f64 v[174:175], s[16:17], v[28:29], v[172:173]
	v_fma_f64 v[172:173], v[26:27], s[14:15], -v[46:47]
	v_add_f64 v[50:51], v[172:173], v[50:51]
	v_mul_f64 v[172:173], v[32:33], s[38:39]
	v_fmac_f64_e32 v[46:47], s[14:15], v[26:27]
	v_add_f64 v[46:47], v[46:47], v[48:49]
	v_fma_f64 v[48:49], v[28:29], s[14:15], -v[172:173]
	v_add_f64 v[48:49], v[48:49], v[54:55]
	v_mul_f64 v[54:55], v[18:19], s[58:59]
	v_add_f64 v[52:53], v[174:175], v[52:53]
	v_fma_f64 v[174:175], s[14:15], v[28:29], v[172:173]
	v_fma_f64 v[172:173], v[26:27], s[26:27], -v[54:55]
	v_add_f64 v[60:61], v[244:245], v[60:61]
	v_add_f64 v[180:181], v[172:173], v[180:181]
	v_mul_f64 v[172:173], v[32:33], s[58:59]
	v_fmac_f64_e32 v[54:55], s[26:27], v[26:27]
	v_add_f64 v[60:61], v[236:237], v[60:61]
	v_fma_f64 v[176:177], s[26:27], v[28:29], v[172:173]
	v_add_f64 v[54:55], v[54:55], v[62:63]
	v_fma_f64 v[62:63], v[28:29], s[26:27], -v[172:173]
	v_mul_f64 v[172:173], v[18:19], s[30:31]
	v_add_f64 v[60:61], v[228:229], v[60:61]
	v_add_f64 v[174:175], v[174:175], v[182:183]
	;; [unrolled: 1-line block ×3, first 2 shown]
	v_fma_f64 v[176:177], v[26:27], s[24:25], -v[172:173]
	v_add_f64 v[60:61], v[220:221], v[60:61]
	v_add_f64 v[188:189], v[176:177], v[186:187]
	v_mul_f64 v[176:177], v[32:33], s[30:31]
	v_fmac_f64_e32 v[172:173], s[24:25], v[26:27]
	v_add_f64 v[240:241], v[240:241], v[250:251]
	v_add_f64 v[60:61], v[212:213], v[60:61]
	;; [unrolled: 1-line block ×3, first 2 shown]
	v_fma_f64 v[172:173], v[28:29], s[24:25], -v[176:177]
	v_add_f64 v[242:243], v[242:243], v[252:253]
	v_add_f64 v[232:233], v[232:233], v[240:241]
	;; [unrolled: 1-line block ×4, first 2 shown]
	v_mul_f64 v[172:173], v[18:19], s[42:43]
	v_add_f64 v[234:235], v[234:235], v[242:243]
	v_add_f64 v[224:225], v[224:225], v[232:233]
	;; [unrolled: 1-line block ×3, first 2 shown]
	v_fma_f64 v[178:179], s[24:25], v[28:29], v[176:177]
	v_fma_f64 v[176:177], v[26:27], s[40:41], -v[172:173]
	v_add_f64 v[226:227], v[226:227], v[234:235]
	v_add_f64 v[216:217], v[216:217], v[224:225]
	;; [unrolled: 1-line block ×3, first 2 shown]
	v_mul_f64 v[176:177], v[32:33], s[42:43]
	v_fmac_f64_e32 v[172:173], s[40:41], v[26:27]
	v_add_f64 v[218:219], v[218:219], v[226:227]
	v_add_f64 v[208:209], v[208:209], v[216:217]
	;; [unrolled: 1-line block ×3, first 2 shown]
	v_fma_f64 v[172:173], v[28:29], s[40:41], -v[176:177]
	v_add_f64 v[210:211], v[210:211], v[218:219]
	v_add_f64 v[218:219], v[172:173], v[198:199]
	v_mul_f64 v[172:173], v[18:19], s[50:51]
	v_add_f64 v[194:195], v[178:179], v[194:195]
	v_fma_f64 v[178:179], s[40:41], v[28:29], v[176:177]
	v_fma_f64 v[176:177], v[26:27], s[18:19], -v[172:173]
	v_add_f64 v[220:221], v[176:177], v[208:209]
	v_mul_f64 v[176:177], v[32:33], s[50:51]
	v_fmac_f64_e32 v[172:173], s[18:19], v[26:27]
	v_add_f64 v[58:59], v[172:173], v[58:59]
	v_fma_f64 v[172:173], v[28:29], s[18:19], -v[176:177]
	v_mul_f64 v[18:19], v[18:19], s[22:23]
	v_add_f64 v[222:223], v[172:173], v[200:201]
	v_fma_f64 v[172:173], v[26:27], s[20:21], -v[18:19]
	v_mul_f64 v[32:33], v[32:33], s[22:23]
	v_fmac_f64_e32 v[18:19], s[20:21], v[26:27]
	v_add_f64 v[228:229], v[6:7], -v[8:9]
	v_add_f64 v[224:225], v[172:173], v[210:211]
	v_fma_f64 v[172:173], s[20:21], v[28:29], v[32:33]
	v_add_f64 v[26:27], v[18:19], v[0:1]
	v_fma_f64 v[0:1], v[28:29], s[20:21], -v[32:33]
	v_add_f64 v[32:33], v[10:11], v[16:17]
	v_add_f64 v[226:227], v[6:7], v[8:9]
	v_add_f64 v[10:11], v[10:11], -v[16:17]
	v_mul_f64 v[6:7], v[228:229], s[42:43]
	v_add_f64 v[202:203], v[178:179], v[202:203]
	v_fma_f64 v[178:179], s[18:19], v[28:29], v[176:177]
	v_add_f64 v[28:29], v[0:1], v[2:3]
	v_fma_f64 v[0:1], v[32:33], s[40:41], -v[6:7]
	v_mul_f64 v[8:9], v[10:11], s[42:43]
	v_fmac_f64_e32 v[6:7], s[40:41], v[32:33]
	v_add_f64 v[208:209], v[6:7], v[30:31]
	v_fma_f64 v[6:7], v[226:227], s[40:41], -v[8:9]
	v_mul_f64 v[30:31], v[228:229], s[36:37]
	v_add_f64 v[210:211], v[6:7], v[34:35]
	v_fma_f64 v[34:35], v[32:33], s[34:35], -v[30:31]
	v_add_f64 v[60:61], v[172:173], v[60:61]
	v_add_f64 v[172:173], v[34:35], v[50:51]
	v_mul_f64 v[34:35], v[10:11], s[36:37]
	v_fmac_f64_e32 v[30:31], s[34:35], v[32:33]
	v_mul_f64 v[16:17], v[228:229], s[48:49]
	v_add_f64 v[176:177], v[30:31], v[46:47]
	v_fma_f64 v[30:31], v[226:227], s[34:35], -v[34:35]
	v_add_f64 v[56:57], v[178:179], v[56:57]
	v_fma_f64 v[6:7], v[32:33], s[24:25], -v[16:17]
	v_fmac_f64_e32 v[16:17], s[24:25], v[32:33]
	v_add_f64 v[178:179], v[30:31], v[48:49]
	v_mul_f64 v[30:31], v[228:229], s[50:51]
	v_add_f64 v[16:17], v[16:17], v[36:37]
	v_fma_f64 v[36:37], s[34:35], v[226:227], v[34:35]
	v_fma_f64 v[34:35], v[32:33], s[18:19], -v[30:31]
	v_add_f64 v[180:181], v[34:35], v[180:181]
	v_mul_f64 v[34:35], v[10:11], s[50:51]
	v_fmac_f64_e32 v[30:31], s[18:19], v[32:33]
	v_add_f64 v[184:185], v[30:31], v[54:55]
	v_fma_f64 v[30:31], v[226:227], s[18:19], -v[34:35]
	v_add_f64 v[186:187], v[30:31], v[62:63]
	v_mul_f64 v[30:31], v[228:229], s[28:29]
	v_add_f64 v[174:175], v[36:37], v[174:175]
	v_fma_f64 v[36:37], s[18:19], v[226:227], v[34:35]
	v_fma_f64 v[34:35], v[32:33], s[26:27], -v[30:31]
	v_add_f64 v[188:189], v[34:35], v[188:189]
	v_mul_f64 v[34:35], v[10:11], s[28:29]
	v_fmac_f64_e32 v[30:31], s[26:27], v[32:33]
	v_add_f64 v[182:183], v[36:37], v[182:183]
	v_fma_f64 v[36:37], s[26:27], v[226:227], v[34:35]
	v_add_f64 v[192:193], v[30:31], v[212:213]
	v_fma_f64 v[30:31], v[226:227], s[26:27], -v[34:35]
	v_add_f64 v[190:191], v[36:37], v[194:195]
	v_add_f64 v[194:195], v[30:31], v[214:215]
	v_mul_f64 v[30:31], v[228:229], s[44:45]
	v_fma_f64 v[34:35], v[32:33], s[16:17], -v[30:31]
	v_add_f64 v[196:197], v[34:35], v[196:197]
	v_mul_f64 v[34:35], v[10:11], s[44:45]
	v_fmac_f64_e32 v[30:31], s[16:17], v[32:33]
	v_fma_f64 v[36:37], s[16:17], v[226:227], v[34:35]
	v_add_f64 v[200:201], v[30:31], v[216:217]
	v_fma_f64 v[30:31], v[226:227], s[16:17], -v[34:35]
	v_add_f64 v[198:199], v[36:37], v[202:203]
	v_add_f64 v[202:203], v[30:31], v[218:219]
	v_mul_f64 v[30:31], v[228:229], s[22:23]
	v_fma_f64 v[34:35], v[32:33], s[20:21], -v[30:31]
	v_add_f64 v[212:213], v[34:35], v[220:221]
	v_mul_f64 v[34:35], v[10:11], s[22:23]
	v_fmac_f64_e32 v[30:31], s[20:21], v[32:33]
	v_add_f64 v[216:217], v[30:31], v[58:59]
	v_fma_f64 v[30:31], v[226:227], s[20:21], -v[34:35]
	v_add_f64 v[218:219], v[30:31], v[222:223]
	v_mul_f64 v[30:31], v[228:229], s[52:53]
	v_mul_f64 v[18:19], v[10:11], s[48:49]
	v_fma_f64 v[36:37], s[20:21], v[226:227], v[34:35]
	v_fma_f64 v[34:35], v[32:33], s[14:15], -v[30:31]
	v_mul_f64 v[10:11], v[10:11], s[52:53]
	v_fmac_f64_e32 v[30:31], s[14:15], v[32:33]
	v_fma_f64 v[2:3], s[40:41], v[226:227], v[8:9]
	v_fma_f64 v[8:9], s[24:25], v[226:227], v[18:19]
	v_add_f64 v[220:221], v[34:35], v[224:225]
	v_fma_f64 v[34:35], s[14:15], v[226:227], v[10:11]
	v_add_f64 v[224:225], v[30:31], v[26:27]
	v_mov_b32_e32 v26, v255
	v_fma_f64 v[10:11], v[226:227], s[14:15], -v[10:11]
	v_add_f64 v[0:1], v[0:1], v[38:39]
	v_add_f64 v[2:3], v[2:3], v[44:45]
	;; [unrolled: 1-line block ×4, first 2 shown]
	v_fma_f64 v[18:19], v[226:227], s[24:25], -v[18:19]
	v_add_f64 v[214:215], v[36:37], v[56:57]
	v_add_f64 v[222:223], v[34:35], v[60:61]
	;; [unrolled: 1-line block ×3, first 2 shown]
	v_lshl_add_u32 v27, v4, 4, v26
	v_add_f64 v[18:19], v[18:19], v[40:41]
	ds_write_b128 v27, v[168:171]
	ds_write_b128 v27, v[0:3] offset:544
	ds_write_b128 v27, v[6:9] offset:1088
	;; [unrolled: 1-line block ×16, first 2 shown]
	s_waitcnt lgkmcnt(0)
	s_barrier
	ds_read_b128 v[240:243], v21
	ds_read_b128 v[236:239], v21 offset:1088
	ds_read_b128 v[176:179], v21 offset:9248
	;; [unrolled: 1-line block ×15, first 2 shown]
	s_and_saveexec_b64 s[14:15], s[0:1]
	s_cbranch_execz .LBB0_7
; %bb.6:
	ds_read_b128 v[208:211], v21 offset:8704
	ds_read_b128 v[204:207], v21 offset:17952
	v_pk_mov_b32 v[14:15], v[12:13], v[12:13] op_sel:[0,1]
.LBB0_7:
	s_or_b64 exec, exec, s[14:15]
	v_add_co_u32_e32 v22, vcc, s10, v25
	v_mov_b32_e32 v23, s11
	v_addc_co_u32_e32 v25, vcc, 0, v23, vcc
	s_movk_i32 s11, 0x2000
	v_add_co_u32_e32 v28, vcc, s11, v22
	v_addc_co_u32_e32 v29, vcc, 0, v25, vcc
	global_load_dwordx4 v[172:175], v[28:29], off offset:784
	s_movk_i32 s8, 0x3000
	s_waitcnt vmcnt(0) lgkmcnt(13)
	v_mul_f64 v[12:13], v[178:179], v[174:175]
	v_fma_f64 v[16:17], v[176:177], v[172:173], -v[12:13]
	v_mul_f64 v[12:13], v[176:177], v[174:175]
	v_fmac_f64_e32 v[12:13], v[178:179], v[172:173]
	global_load_dwordx4 v[176:179], v[28:29], off offset:1872
	s_waitcnt vmcnt(0) lgkmcnt(12)
	v_mul_f64 v[18:19], v[182:183], v[178:179]
	v_fma_f64 v[246:247], v[180:181], v[176:177], -v[18:19]
	v_mul_f64 v[18:19], v[180:181], v[178:179]
	v_fmac_f64_e32 v[18:19], v[182:183], v[176:177]
	global_load_dwordx4 v[180:183], v[28:29], off offset:2960
	s_waitcnt vmcnt(0) lgkmcnt(9)
	v_mul_f64 v[30:31], v[186:187], v[182:183]
	v_mul_f64 v[248:249], v[184:185], v[182:183]
	v_fma_f64 v[250:251], v[184:185], v[180:181], -v[30:31]
	v_fmac_f64_e32 v[248:249], v[186:187], v[180:181]
	global_load_dwordx4 v[184:187], v[28:29], off offset:4048
	s_waitcnt vmcnt(0) lgkmcnt(8)
	v_mul_f64 v[28:29], v[190:191], v[186:187]
	v_fma_f64 v[252:253], v[188:189], v[184:185], -v[28:29]
	v_add_co_u32_e32 v28, vcc, s8, v22
	v_mul_f64 v[244:245], v[188:189], v[186:187]
	v_addc_co_u32_e32 v29, vcc, 0, v25, vcc
	v_fmac_f64_e32 v[244:245], v[190:191], v[184:185]
	global_load_dwordx4 v[188:191], v[28:29], off offset:1040
	global_load_dwordx4 v[192:195], v[28:29], off offset:2128
	;; [unrolled: 1-line block ×3, first 2 shown]
	s_movk_i32 s8, 0x4000
	s_waitcnt vmcnt(2) lgkmcnt(5)
	v_mul_f64 v[30:31], v[170:171], v[190:191]
	s_waitcnt vmcnt(1) lgkmcnt(4)
	v_mul_f64 v[34:35], v[10:11], v[194:195]
	v_fma_f64 v[34:35], v[8:9], v[192:193], -v[34:35]
	v_mul_f64 v[36:37], v[8:9], v[194:195]
	s_waitcnt vmcnt(0) lgkmcnt(1)
	v_mul_f64 v[8:9], v[6:7], v[198:199]
	v_fma_f64 v[28:29], v[4:5], v[196:197], -v[8:9]
	v_mul_f64 v[38:39], v[4:5], v[198:199]
	v_add_co_u32_e32 v4, vcc, s8, v22
	v_addc_co_u32_e32 v5, vcc, 0, v25, vcc
	global_load_dwordx4 v[200:203], v[4:5], off offset:208
	v_mul_f64 v[32:33], v[168:169], v[190:191]
	v_fma_f64 v[30:31], v[168:169], v[188:189], -v[30:31]
	v_fmac_f64_e32 v[32:33], v[170:171], v[188:189]
	v_fmac_f64_e32 v[36:37], v[10:11], v[192:193]
	;; [unrolled: 1-line block ×3, first 2 shown]
	v_add_f64 v[8:9], v[236:237], -v[246:247]
	v_add_f64 v[10:11], v[238:239], -v[18:19]
	;; [unrolled: 1-line block ×5, first 2 shown]
	v_lshl_add_u32 v25, v20, 4, v26
	v_fma_f64 v[234:235], v[234:235], 2.0, -v[18:19]
	v_fma_f64 v[222:223], v[222:223], 2.0, -v[246:247]
	;; [unrolled: 1-line block ×3, first 2 shown]
	s_waitcnt vmcnt(0) lgkmcnt(0)
	v_mul_f64 v[4:5], v[2:3], v[202:203]
	v_fma_f64 v[40:41], v[0:1], v[200:201], -v[4:5]
	v_mul_f64 v[42:43], v[0:1], v[202:203]
	v_lshlrev_b64 v[0:1], 4, v[14:15]
	v_add_co_u32_e32 v0, vcc, s10, v0
	v_addc_co_u32_e32 v1, vcc, v23, v1, vcc
	v_add_co_u32_e32 v0, vcc, s11, v0
	v_addc_co_u32_e32 v1, vcc, 0, v1, vcc
	v_fmac_f64_e32 v[42:43], v[2:3], v[200:201]
	global_load_dwordx4 v[2:5], v[0:1], off offset:784
	v_fma_f64 v[14:15], v[238:239], 2.0, -v[10:11]
	v_add_f64 v[238:239], v[230:231], -v[244:245]
	v_add_f64 v[244:245], v[220:221], -v[34:35]
	;; [unrolled: 1-line block ×3, first 2 shown]
	v_fma_f64 v[230:231], v[230:231], 2.0, -v[238:239]
	v_fma_f64 v[220:221], v[220:221], 2.0, -v[244:245]
	;; [unrolled: 1-line block ×3, first 2 shown]
	s_waitcnt vmcnt(0)
	v_mul_f64 v[0:1], v[206:207], v[4:5]
	v_mul_f64 v[46:47], v[204:205], v[4:5]
	v_accvgpr_write_b32 a101, v5
	v_fma_f64 v[44:45], v[204:205], v[2:3], -v[0:1]
	v_accvgpr_write_b32 a100, v4
	v_accvgpr_write_b32 a99, v3
	;; [unrolled: 1-line block ×3, first 2 shown]
	v_fmac_f64_e32 v[46:47], v[206:207], v[2:3]
	v_add_f64 v[0:1], v[240:241], -v[16:17]
	v_add_f64 v[2:3], v[242:243], -v[12:13]
	v_fma_f64 v[4:5], v[240:241], 2.0, -v[0:1]
	v_fma_f64 v[6:7], v[242:243], 2.0, -v[2:3]
	;; [unrolled: 1-line block ×3, first 2 shown]
	v_add_f64 v[16:17], v[232:233], -v[250:251]
	v_add_f64 v[236:237], v[228:229], -v[252:253]
	;; [unrolled: 1-line block ×8, first 2 shown]
	v_fma_f64 v[232:233], v[232:233], 2.0, -v[16:17]
	v_fma_f64 v[228:229], v[228:229], 2.0, -v[236:237]
	v_fma_f64 v[224:225], v[224:225], 2.0, -v[240:241]
	v_fma_f64 v[226:227], v[226:227], 2.0, -v[242:243]
	v_fma_f64 v[218:219], v[218:219], 2.0, -v[250:251]
	v_fma_f64 v[214:215], v[214:215], 2.0, -v[30:31]
	ds_write_b128 v21, v[4:7]
	ds_write_b128 v25, v[0:3] offset:9248
	ds_write_b128 v21, v[12:15] offset:1088
	;; [unrolled: 1-line block ×15, first 2 shown]
	s_and_saveexec_b64 s[10:11], s[0:1]
	s_cbranch_execz .LBB0_9
; %bb.8:
	v_fma_f64 v[2:3], v[210:211], 2.0, -v[206:207]
	v_fma_f64 v[0:1], v[208:209], 2.0, -v[204:205]
	ds_write_b128 v21, v[0:3] offset:8704
	ds_write_b128 v25, v[204:207] offset:17952
.LBB0_9:
	s_or_b64 exec, exec, s[10:11]
	v_mov_b32_e32 v0, s9
	v_addc_co_u32_e64 v22, vcc, 0, v0, s[2:3]
	s_movk_i32 s2, 0x4840
	v_add_co_u32_e32 v0, vcc, s2, v254
	v_addc_co_u32_e32 v1, vcc, 0, v22, vcc
	v_add_co_u32_e32 v2, vcc, s8, v254
	v_addc_co_u32_e32 v3, vcc, 0, v22, vcc
	s_movk_i32 s2, 0x5000
	v_add_co_u32_e32 v4, vcc, s2, v254
	s_waitcnt lgkmcnt(0)
	s_barrier
	global_load_dwordx4 v[220:223], v[2:3], off offset:2112
	global_load_dwordx4 v[216:219], v[0:1], off offset:1088
	;; [unrolled: 1-line block ×4, first 2 shown]
	v_addc_co_u32_e32 v5, vcc, 0, v22, vcc
	global_load_dwordx4 v[0:3], v[4:5], off offset:2368
	global_load_dwordx4 v[224:227], v[4:5], off offset:3456
	s_movk_i32 s2, 0x6000
	v_add_co_u32_e32 v4, vcc, s2, v254
	v_addc_co_u32_e32 v5, vcc, 0, v22, vcc
	global_load_dwordx4 v[228:231], v[4:5], off offset:448
	global_load_dwordx4 v[232:235], v[4:5], off offset:1536
	;; [unrolled: 1-line block ×3, first 2 shown]
	s_nop 0
	global_load_dwordx4 v[4:7], v[4:5], off offset:3712
	s_movk_i32 s2, 0x7000
	v_add_co_u32_e32 v40, vcc, s2, v254
	v_addc_co_u32_e32 v41, vcc, 0, v22, vcc
	global_load_dwordx4 v[8:11], v[40:41], off offset:704
	global_load_dwordx4 v[240:243], v[40:41], off offset:1792
	ds_read_b128 v[12:15], v21
	ds_read_b128 v[16:19], v21 offset:1088
	ds_read_b128 v[28:31], v21 offset:2176
	;; [unrolled: 1-line block ×3, first 2 shown]
	global_load_dwordx4 v[244:247], v[40:41], off offset:2880
	ds_read_b128 v[32:35], v21 offset:4352
	ds_read_b128 v[36:39], v21 offset:5440
	global_load_dwordx4 v[40:43], v[40:41], off offset:3968
	s_mov_b32 s2, 0x8000
	v_add_co_u32_e32 v48, vcc, s2, v254
	v_addc_co_u32_e32 v49, vcc, 0, v22, vcc
	global_load_dwordx4 v[252:255], v[48:49], off offset:960
	global_load_dwordx4 v[44:47], v[48:49], off offset:2048
	s_nop 0
	global_load_dwordx4 v[48:51], v[48:49], off offset:3136
	s_mov_b32 s40, 0x6c9a05f6
	s_mov_b32 s28, 0x5d8e7cdc
	;; [unrolled: 1-line block ×46, first 2 shown]
	s_waitcnt vmcnt(16) lgkmcnt(5)
	v_mul_f64 v[52:53], v[14:15], v[222:223]
	v_mul_f64 v[54:55], v[12:13], v[222:223]
	s_waitcnt vmcnt(15) lgkmcnt(4)
	v_mul_f64 v[56:57], v[18:19], v[218:219]
	v_mul_f64 v[222:223], v[16:17], v[218:219]
	;; [unrolled: 3-line block ×5, first 2 shown]
	v_fma_f64 v[52:53], v[12:13], v[220:221], -v[52:53]
	v_fmac_f64_e32 v[54:55], v[14:15], v[220:221]
	v_fma_f64 v[220:221], v[16:17], v[216:217], -v[56:57]
	v_fmac_f64_e32 v[222:223], v[18:19], v[216:217]
	;; [unrolled: 2-line block ×5, first 2 shown]
	ds_write_b128 v21, v[52:55]
	ds_write_b128 v21, v[220:223] offset:1088
	ds_write_b128 v21, v[216:219] offset:2176
	;; [unrolled: 1-line block ×4, first 2 shown]
	ds_read_b128 v[12:15], v21 offset:6528
	s_waitcnt vmcnt(11) lgkmcnt(6)
	v_mul_f64 v[2:3], v[38:39], v[226:227]
	v_fma_f64 v[0:1], v[36:37], v[224:225], -v[2:3]
	v_mul_f64 v[2:3], v[36:37], v[226:227]
	v_fmac_f64_e32 v[2:3], v[38:39], v[224:225]
	ds_write_b128 v21, v[0:3] offset:5440
	ds_read_b128 v[0:3], v21 offset:7616
	s_waitcnt vmcnt(10) lgkmcnt(2)
	v_mul_f64 v[16:17], v[14:15], v[230:231]
	v_mul_f64 v[18:19], v[12:13], v[230:231]
	v_fma_f64 v[16:17], v[12:13], v[228:229], -v[16:17]
	v_fmac_f64_e32 v[18:19], v[14:15], v[228:229]
	ds_write_b128 v21, v[16:19] offset:6528
	ds_read_b128 v[16:19], v21 offset:8704
	s_waitcnt vmcnt(9) lgkmcnt(2)
	v_mul_f64 v[12:13], v[2:3], v[234:235]
	v_mul_f64 v[14:15], v[0:1], v[234:235]
	v_fma_f64 v[12:13], v[0:1], v[232:233], -v[12:13]
	v_fmac_f64_e32 v[14:15], v[2:3], v[232:233]
	ds_read_b128 v[0:3], v21 offset:9792
	ds_write_b128 v21, v[12:15] offset:7616
	s_waitcnt vmcnt(8) lgkmcnt(2)
	v_mul_f64 v[12:13], v[18:19], v[238:239]
	v_mul_f64 v[14:15], v[16:17], v[238:239]
	v_fma_f64 v[12:13], v[16:17], v[236:237], -v[12:13]
	v_fmac_f64_e32 v[14:15], v[18:19], v[236:237]
	ds_read_b128 v[16:19], v21 offset:10880
	ds_write_b128 v21, v[12:15] offset:8704
	s_waitcnt vmcnt(7) lgkmcnt(3)
	v_mul_f64 v[12:13], v[2:3], v[6:7]
	v_mul_f64 v[14:15], v[0:1], v[6:7]
	v_fma_f64 v[12:13], v[0:1], v[4:5], -v[12:13]
	v_fmac_f64_e32 v[14:15], v[2:3], v[4:5]
	ds_read_b128 v[0:3], v21 offset:11968
	s_waitcnt vmcnt(6) lgkmcnt(2)
	v_mul_f64 v[4:5], v[18:19], v[10:11]
	v_mul_f64 v[6:7], v[16:17], v[10:11]
	v_fma_f64 v[4:5], v[16:17], v[8:9], -v[4:5]
	v_fmac_f64_e32 v[6:7], v[18:19], v[8:9]
	ds_read_b128 v[8:11], v21 offset:13056
	ds_write_b128 v21, v[4:7] offset:10880
	s_waitcnt vmcnt(5) lgkmcnt(2)
	v_mul_f64 v[4:5], v[2:3], v[242:243]
	v_mul_f64 v[6:7], v[0:1], v[242:243]
	v_fma_f64 v[4:5], v[0:1], v[240:241], -v[4:5]
	v_fmac_f64_e32 v[6:7], v[2:3], v[240:241]
	ds_read_b128 v[0:3], v21 offset:14144
	ds_write_b128 v21, v[4:7] offset:11968
	;; [unrolled: 7-line block ×4, first 2 shown]
	s_waitcnt vmcnt(2) lgkmcnt(3)
	v_mul_f64 v[4:5], v[10:11], v[254:255]
	v_mul_f64 v[6:7], v[8:9], v[254:255]
	v_fma_f64 v[4:5], v[8:9], v[252:253], -v[4:5]
	v_fmac_f64_e32 v[6:7], v[10:11], v[252:253]
	ds_write_b128 v21, v[4:7] offset:15232
	ds_read_b128 v[4:7], v21 offset:17408
	s_waitcnt vmcnt(1) lgkmcnt(3)
	v_mul_f64 v[8:9], v[2:3], v[46:47]
	v_mul_f64 v[10:11], v[0:1], v[46:47]
	v_fma_f64 v[8:9], v[0:1], v[44:45], -v[8:9]
	v_fmac_f64_e32 v[10:11], v[2:3], v[44:45]
	s_waitcnt vmcnt(0) lgkmcnt(0)
	v_mul_f64 v[0:1], v[6:7], v[50:51]
	v_mul_f64 v[2:3], v[4:5], v[50:51]
	v_fma_f64 v[0:1], v[4:5], v[48:49], -v[0:1]
	v_fmac_f64_e32 v[2:3], v[6:7], v[48:49]
	ds_write_b128 v21, v[12:15] offset:9792
	ds_write_b128 v21, v[8:11] offset:16320
	;; [unrolled: 1-line block ×3, first 2 shown]
	s_waitcnt lgkmcnt(0)
	s_barrier
	ds_read_b128 v[0:3], v21
	ds_read_b128 v[12:15], v21 offset:1088
	ds_read_b128 v[4:7], v21 offset:2176
	;; [unrolled: 1-line block ×16, first 2 shown]
	s_waitcnt lgkmcnt(14)
	v_add_f64 v[34:35], v[2:3], v[14:15]
	v_add_f64 v[32:33], v[0:1], v[12:13]
	;; [unrolled: 1-line block ×4, first 2 shown]
	s_waitcnt lgkmcnt(13)
	v_add_f64 v[34:35], v[34:35], v[254:255]
	v_add_f64 v[32:33], v[32:33], v[252:253]
	s_waitcnt lgkmcnt(12)
	v_add_f64 v[34:35], v[34:35], v[246:247]
	v_add_f64 v[32:33], v[32:33], v[244:245]
	;; [unrolled: 3-line block ×14, first 2 shown]
	v_add_f64 v[14:15], v[14:15], -v[30:31]
	v_add_f64 v[208:209], v[32:33], v[28:29]
	v_add_f64 v[32:33], v[12:13], v[28:29]
	v_mul_f64 v[170:171], v[14:15], s[40:41]
	v_add_f64 v[12:13], v[12:13], -v[28:29]
	v_mul_f64 v[28:29], v[14:15], s[28:29]
	v_mul_f64 v[40:41], v[14:15], s[20:21]
	;; [unrolled: 1-line block ×5, first 2 shown]
	v_fma_f64 v[68:69], s[42:43], v[32:33], v[170:171]
	v_fma_f64 v[74:75], v[32:33], s[42:43], -v[170:171]
	v_mul_f64 v[170:171], v[14:15], s[46:47]
	v_mul_f64 v[14:15], v[14:15], s[52:53]
	v_fma_f64 v[30:31], s[30:31], v[32:33], v[28:29]
	v_fma_f64 v[28:29], v[32:33], s[30:31], -v[28:29]
	v_fma_f64 v[42:43], s[22:23], v[32:33], v[40:41]
	v_fma_f64 v[40:41], v[32:33], s[22:23], -v[40:41]
	;; [unrolled: 2-line block ×7, first 2 shown]
	v_add_f64 v[30:31], v[0:1], v[30:31]
	v_mul_f64 v[36:37], v[34:35], s[30:31]
	v_add_f64 v[28:29], v[0:1], v[28:29]
	v_add_f64 v[42:43], v[0:1], v[42:43]
	v_mul_f64 v[44:45], v[34:35], s[22:23]
	v_add_f64 v[40:41], v[0:1], v[40:41]
	;; [unrolled: 3-line block ×8, first 2 shown]
	v_add_f64 v[14:15], v[6:7], v[18:19]
	v_add_f64 v[6:7], v[6:7], -v[18:19]
	v_fma_f64 v[38:39], s[36:37], v[12:13], v[36:37]
	v_fmac_f64_e32 v[36:37], s[28:29], v[12:13]
	v_fma_f64 v[46:47], s[24:25], v[12:13], v[44:45]
	v_fmac_f64_e32 v[44:45], s[20:21], v[12:13]
	;; [unrolled: 2-line block ×8, first 2 shown]
	v_add_f64 v[12:13], v[4:5], v[16:17]
	v_add_f64 v[4:5], v[4:5], -v[16:17]
	v_mul_f64 v[16:17], v[6:7], s[20:21]
	v_fma_f64 v[18:19], s[22:23], v[12:13], v[16:17]
	v_add_f64 v[18:19], v[18:19], v[30:31]
	v_mul_f64 v[30:31], v[14:15], s[22:23]
	v_add_f64 v[36:37], v[2:3], v[36:37]
	v_fma_f64 v[32:33], s[24:25], v[4:5], v[30:31]
	v_fma_f64 v[16:17], v[12:13], s[22:23], -v[16:17]
	v_fmac_f64_e32 v[30:31], s[20:21], v[4:5]
	v_add_f64 v[38:39], v[2:3], v[38:39]
	v_add_f64 v[16:17], v[16:17], v[28:29]
	;; [unrolled: 1-line block ×3, first 2 shown]
	v_mul_f64 v[36:37], v[14:15], s[8:9]
	v_add_f64 v[44:45], v[2:3], v[44:45]
	v_add_f64 v[32:33], v[32:33], v[38:39]
	v_mul_f64 v[30:31], v[6:7], s[2:3]
	v_fma_f64 v[38:39], s[10:11], v[4:5], v[36:37]
	v_fmac_f64_e32 v[36:37], s[2:3], v[4:5]
	v_add_f64 v[46:47], v[2:3], v[46:47]
	v_add_f64 v[54:55], v[2:3], v[54:55]
	;; [unrolled: 1-line block ×13, first 2 shown]
	v_fma_f64 v[34:35], s[8:9], v[12:13], v[30:31]
	v_fma_f64 v[30:31], v[12:13], s[8:9], -v[30:31]
	v_add_f64 v[36:37], v[36:37], v[44:45]
	v_mul_f64 v[44:45], v[14:15], s[42:43]
	v_add_f64 v[38:39], v[38:39], v[46:47]
	v_add_f64 v[30:31], v[30:31], v[40:41]
	v_mul_f64 v[40:41], v[6:7], s[40:41]
	v_fma_f64 v[46:47], s[44:45], v[4:5], v[44:45]
	v_fmac_f64_e32 v[44:45], s[40:41], v[4:5]
	v_add_f64 v[34:35], v[34:35], v[42:43]
	v_fma_f64 v[42:43], s[42:43], v[12:13], v[40:41]
	v_fma_f64 v[40:41], v[12:13], s[42:43], -v[40:41]
	v_add_f64 v[44:45], v[44:45], v[52:53]
	v_mul_f64 v[52:53], v[14:15], s[54:55]
	v_add_f64 v[46:47], v[46:47], v[54:55]
	v_add_f64 v[40:41], v[40:41], v[48:49]
	v_mul_f64 v[48:49], v[6:7], s[52:53]
	v_fma_f64 v[54:55], s[56:57], v[4:5], v[52:53]
	v_fmac_f64_e32 v[52:53], s[52:53], v[4:5]
	v_add_f64 v[42:43], v[42:43], v[50:51]
	;; [unrolled: 10-line block ×3, first 2 shown]
	v_fma_f64 v[58:59], s[48:49], v[12:13], v[56:57]
	v_fma_f64 v[56:57], v[12:13], s[48:49], -v[56:57]
	v_add_f64 v[22:23], v[60:61], v[22:23]
	v_mul_f64 v[60:61], v[6:7], s[38:39]
	v_add_f64 v[58:59], v[58:59], v[66:67]
	v_add_f64 v[56:57], v[56:57], v[64:65]
	v_fma_f64 v[64:65], s[34:35], v[12:13], v[60:61]
	v_mul_f64 v[66:67], v[14:15], s[34:35]
	v_add_f64 v[64:65], v[64:65], v[68:69]
	v_fma_f64 v[68:69], s[26:27], v[4:5], v[66:67]
	v_fmac_f64_e32 v[66:67], s[38:39], v[4:5]
	v_fma_f64 v[60:61], v[12:13], s[34:35], -v[60:61]
	v_add_f64 v[66:67], v[66:67], v[70:71]
	v_mul_f64 v[70:71], v[6:7], s[18:19]
	v_add_f64 v[68:69], v[68:69], v[72:73]
	v_add_f64 v[60:61], v[60:61], v[74:75]
	v_fma_f64 v[72:73], s[16:17], v[12:13], v[70:71]
	v_mul_f64 v[74:75], v[14:15], s[16:17]
	v_add_f64 v[72:73], v[72:73], v[76:77]
	v_fma_f64 v[76:77], s[14:15], v[4:5], v[74:75]
	v_fmac_f64_e32 v[74:75], s[18:19], v[4:5]
	v_mul_f64 v[6:7], v[6:7], s[36:37]
	v_add_f64 v[74:75], v[74:75], v[78:79]
	v_fma_f64 v[78:79], s[30:31], v[12:13], v[6:7]
	v_fma_f64 v[6:7], v[12:13], s[30:31], -v[6:7]
	v_mul_f64 v[14:15], v[14:15], s[30:31]
	v_add_f64 v[0:1], v[6:7], v[0:1]
	v_add_f64 v[6:7], v[254:255], v[10:11]
	v_add_f64 v[10:11], v[254:255], -v[10:11]
	v_add_f64 v[76:77], v[76:77], v[80:81]
	v_fma_f64 v[70:71], v[12:13], s[16:17], -v[70:71]
	v_fma_f64 v[80:81], s[28:29], v[4:5], v[14:15]
	v_fmac_f64_e32 v[14:15], s[36:37], v[4:5]
	v_add_f64 v[4:5], v[252:253], v[8:9]
	v_mul_f64 v[12:13], v[10:11], s[14:15]
	v_add_f64 v[2:3], v[14:15], v[2:3]
	v_fma_f64 v[14:15], s[16:17], v[4:5], v[12:13]
	v_add_f64 v[8:9], v[252:253], -v[8:9]
	v_add_f64 v[14:15], v[14:15], v[18:19]
	v_mul_f64 v[18:19], v[6:7], s[16:17]
	v_add_f64 v[70:71], v[70:71], v[82:83]
	v_fma_f64 v[82:83], s[18:19], v[8:9], v[18:19]
	v_fma_f64 v[12:13], v[4:5], s[16:17], -v[12:13]
	v_fmac_f64_e32 v[18:19], s[14:15], v[8:9]
	v_add_f64 v[12:13], v[12:13], v[16:17]
	v_add_f64 v[16:17], v[18:19], v[28:29]
	v_mul_f64 v[18:19], v[10:11], s[40:41]
	v_fma_f64 v[28:29], s[42:43], v[4:5], v[18:19]
	v_add_f64 v[28:29], v[28:29], v[34:35]
	v_mul_f64 v[34:35], v[6:7], s[42:43]
	v_add_f64 v[32:33], v[82:83], v[32:33]
	v_fma_f64 v[82:83], s[44:45], v[8:9], v[34:35]
	v_fma_f64 v[18:19], v[4:5], s[42:43], -v[18:19]
	v_fmac_f64_e32 v[34:35], s[40:41], v[8:9]
	v_add_f64 v[18:19], v[18:19], v[30:31]
	v_add_f64 v[30:31], v[34:35], v[36:37]
	v_mul_f64 v[34:35], v[10:11], s[56:57]
	v_fma_f64 v[36:37], s[54:55], v[4:5], v[34:35]
	v_add_f64 v[36:37], v[36:37], v[42:43]
	v_mul_f64 v[42:43], v[6:7], s[54:55]
	v_add_f64 v[38:39], v[82:83], v[38:39]
	v_fma_f64 v[82:83], s[52:53], v[8:9], v[42:43]
	v_fma_f64 v[34:35], v[4:5], s[54:55], -v[34:35]
	v_fmac_f64_e32 v[42:43], s[56:57], v[8:9]
	v_add_f64 v[34:35], v[34:35], v[40:41]
	v_add_f64 v[40:41], v[42:43], v[44:45]
	v_mul_f64 v[42:43], v[10:11], s[38:39]
	v_fma_f64 v[44:45], s[34:35], v[4:5], v[42:43]
	v_add_f64 v[44:45], v[44:45], v[50:51]
	v_mul_f64 v[50:51], v[6:7], s[34:35]
	v_add_f64 v[46:47], v[82:83], v[46:47]
	v_fma_f64 v[82:83], s[26:27], v[8:9], v[50:51]
	v_fma_f64 v[42:43], v[4:5], s[34:35], -v[42:43]
	v_fmac_f64_e32 v[50:51], s[38:39], v[8:9]
	v_add_f64 v[42:43], v[42:43], v[48:49]
	v_add_f64 v[48:49], v[50:51], v[52:53]
	v_mul_f64 v[50:51], v[10:11], s[24:25]
	v_fma_f64 v[52:53], s[22:23], v[4:5], v[50:51]
	v_add_f64 v[52:53], v[52:53], v[58:59]
	v_mul_f64 v[58:59], v[6:7], s[22:23]
	v_fma_f64 v[50:51], v[4:5], s[22:23], -v[50:51]
	v_add_f64 v[54:55], v[82:83], v[54:55]
	v_fma_f64 v[82:83], s[20:21], v[8:9], v[58:59]
	v_add_f64 v[50:51], v[50:51], v[56:57]
	v_fmac_f64_e32 v[58:59], s[24:25], v[8:9]
	v_mul_f64 v[56:57], v[10:11], s[28:29]
	v_add_f64 v[22:23], v[58:59], v[22:23]
	v_fma_f64 v[58:59], s[30:31], v[4:5], v[56:57]
	v_add_f64 v[62:63], v[62:63], v[168:169]
	v_add_f64 v[58:59], v[58:59], v[64:65]
	v_mul_f64 v[64:65], v[6:7], s[30:31]
	v_add_f64 v[62:63], v[82:83], v[62:63]
	v_fma_f64 v[82:83], s[36:37], v[8:9], v[64:65]
	v_fma_f64 v[56:57], v[4:5], s[30:31], -v[56:57]
	v_fmac_f64_e32 v[64:65], s[28:29], v[8:9]
	v_add_f64 v[56:57], v[56:57], v[60:61]
	v_add_f64 v[60:61], v[64:65], v[66:67]
	v_mul_f64 v[64:65], v[10:11], s[2:3]
	v_fma_f64 v[66:67], s[8:9], v[4:5], v[64:65]
	v_add_f64 v[66:67], v[66:67], v[72:73]
	v_mul_f64 v[72:73], v[6:7], s[8:9]
	v_add_f64 v[68:69], v[82:83], v[68:69]
	v_fma_f64 v[82:83], s[10:11], v[8:9], v[72:73]
	v_fma_f64 v[64:65], v[4:5], s[8:9], -v[64:65]
	v_fmac_f64_e32 v[72:73], s[2:3], v[8:9]
	v_mul_f64 v[10:11], v[10:11], s[46:47]
	v_add_f64 v[78:79], v[78:79], v[170:171]
	v_add_f64 v[64:65], v[64:65], v[70:71]
	;; [unrolled: 1-line block ×3, first 2 shown]
	v_fma_f64 v[72:73], s[48:49], v[4:5], v[10:11]
	v_mul_f64 v[6:7], v[6:7], s[48:49]
	v_fma_f64 v[4:5], v[4:5], s[48:49], -v[10:11]
	v_add_f64 v[10:11], v[246:247], -v[250:251]
	v_add_f64 v[80:81], v[80:81], v[84:85]
	v_add_f64 v[72:73], v[72:73], v[78:79]
	v_fma_f64 v[74:75], s[50:51], v[8:9], v[6:7]
	v_add_f64 v[0:1], v[4:5], v[0:1]
	v_fmac_f64_e32 v[6:7], s[46:47], v[8:9]
	v_add_f64 v[4:5], v[244:245], v[248:249]
	v_mul_f64 v[78:79], v[10:11], s[2:3]
	v_add_f64 v[74:75], v[74:75], v[80:81]
	v_add_f64 v[2:3], v[6:7], v[2:3]
	;; [unrolled: 1-line block ×3, first 2 shown]
	v_fma_f64 v[80:81], s[8:9], v[4:5], v[78:79]
	v_add_f64 v[8:9], v[244:245], -v[248:249]
	v_add_f64 v[14:15], v[80:81], v[14:15]
	v_mul_f64 v[80:81], v[6:7], s[8:9]
	v_fma_f64 v[78:79], v[4:5], s[8:9], -v[78:79]
	v_add_f64 v[76:77], v[82:83], v[76:77]
	v_fma_f64 v[82:83], s[10:11], v[8:9], v[80:81]
	v_add_f64 v[12:13], v[78:79], v[12:13]
	v_fmac_f64_e32 v[80:81], s[2:3], v[8:9]
	v_mul_f64 v[78:79], v[10:11], s[52:53]
	v_add_f64 v[16:17], v[80:81], v[16:17]
	v_fma_f64 v[80:81], s[54:55], v[4:5], v[78:79]
	v_add_f64 v[28:29], v[80:81], v[28:29]
	v_mul_f64 v[80:81], v[6:7], s[54:55]
	v_fma_f64 v[78:79], v[4:5], s[54:55], -v[78:79]
	v_add_f64 v[32:33], v[82:83], v[32:33]
	v_fma_f64 v[82:83], s[56:57], v[8:9], v[80:81]
	v_add_f64 v[18:19], v[78:79], v[18:19]
	v_fmac_f64_e32 v[80:81], s[52:53], v[8:9]
	v_mul_f64 v[78:79], v[10:11], s[38:39]
	v_add_f64 v[30:31], v[80:81], v[30:31]
	v_fma_f64 v[80:81], s[34:35], v[4:5], v[78:79]
	;; [unrolled: 10-line block ×6, first 2 shown]
	v_fma_f64 v[78:79], v[4:5], s[42:43], -v[78:79]
	v_mul_f64 v[10:11], v[10:11], s[24:25]
	v_add_f64 v[66:67], v[80:81], v[66:67]
	v_mul_f64 v[80:81], v[6:7], s[42:43]
	v_add_f64 v[64:65], v[78:79], v[64:65]
	v_fma_f64 v[78:79], s[22:23], v[4:5], v[10:11]
	v_mul_f64 v[6:7], v[6:7], s[22:23]
	v_add_f64 v[72:73], v[78:79], v[72:73]
	v_fma_f64 v[78:79], s[20:21], v[8:9], v[6:7]
	v_fma_f64 v[4:5], v[4:5], s[22:23], -v[10:11]
	v_add_f64 v[10:11], v[238:239], -v[242:243]
	v_add_f64 v[68:69], v[82:83], v[68:69]
	v_fma_f64 v[82:83], s[40:41], v[8:9], v[80:81]
	v_fmac_f64_e32 v[80:81], s[44:45], v[8:9]
	v_add_f64 v[74:75], v[78:79], v[74:75]
	v_add_f64 v[0:1], v[4:5], v[0:1]
	v_fmac_f64_e32 v[6:7], s[24:25], v[8:9]
	v_add_f64 v[4:5], v[236:237], v[240:241]
	v_mul_f64 v[78:79], v[10:11], s[26:27]
	v_add_f64 v[70:71], v[80:81], v[70:71]
	v_add_f64 v[2:3], v[6:7], v[2:3]
	v_add_f64 v[6:7], v[238:239], v[242:243]
	v_fma_f64 v[80:81], s[34:35], v[4:5], v[78:79]
	v_add_f64 v[8:9], v[236:237], -v[240:241]
	v_add_f64 v[14:15], v[80:81], v[14:15]
	v_mul_f64 v[80:81], v[6:7], s[34:35]
	v_fma_f64 v[78:79], v[4:5], s[34:35], -v[78:79]
	v_add_f64 v[76:77], v[82:83], v[76:77]
	v_fma_f64 v[82:83], s[38:39], v[8:9], v[80:81]
	v_add_f64 v[12:13], v[78:79], v[12:13]
	v_fmac_f64_e32 v[80:81], s[26:27], v[8:9]
	v_mul_f64 v[78:79], v[10:11], s[50:51]
	v_add_f64 v[16:17], v[80:81], v[16:17]
	v_fma_f64 v[80:81], s[48:49], v[4:5], v[78:79]
	v_add_f64 v[28:29], v[80:81], v[28:29]
	v_mul_f64 v[80:81], v[6:7], s[48:49]
	v_fma_f64 v[78:79], v[4:5], s[48:49], -v[78:79]
	v_add_f64 v[32:33], v[82:83], v[32:33]
	v_fma_f64 v[82:83], s[46:47], v[8:9], v[80:81]
	v_add_f64 v[18:19], v[78:79], v[18:19]
	v_fmac_f64_e32 v[80:81], s[50:51], v[8:9]
	v_mul_f64 v[78:79], v[10:11], s[24:25]
	v_add_f64 v[30:31], v[80:81], v[30:31]
	v_fma_f64 v[80:81], s[22:23], v[4:5], v[78:79]
	;; [unrolled: 10-line block ×6, first 2 shown]
	v_fma_f64 v[78:79], v[4:5], s[30:31], -v[78:79]
	v_mul_f64 v[10:11], v[10:11], s[40:41]
	v_add_f64 v[66:67], v[80:81], v[66:67]
	v_mul_f64 v[80:81], v[6:7], s[30:31]
	v_add_f64 v[64:65], v[78:79], v[64:65]
	v_fma_f64 v[78:79], s[42:43], v[4:5], v[10:11]
	v_mul_f64 v[6:7], v[6:7], s[42:43]
	v_add_f64 v[72:73], v[78:79], v[72:73]
	v_fma_f64 v[78:79], s[44:45], v[8:9], v[6:7]
	v_fma_f64 v[4:5], v[4:5], s[42:43], -v[10:11]
	v_add_f64 v[10:11], v[230:231], -v[234:235]
	v_add_f64 v[68:69], v[82:83], v[68:69]
	v_fma_f64 v[82:83], s[36:37], v[8:9], v[80:81]
	v_fmac_f64_e32 v[80:81], s[28:29], v[8:9]
	v_add_f64 v[74:75], v[78:79], v[74:75]
	v_add_f64 v[0:1], v[4:5], v[0:1]
	v_fmac_f64_e32 v[6:7], s[40:41], v[8:9]
	v_add_f64 v[4:5], v[228:229], v[232:233]
	v_mul_f64 v[78:79], v[10:11], s[40:41]
	v_add_f64 v[70:71], v[80:81], v[70:71]
	v_add_f64 v[2:3], v[6:7], v[2:3]
	;; [unrolled: 1-line block ×3, first 2 shown]
	v_fma_f64 v[80:81], s[42:43], v[4:5], v[78:79]
	v_add_f64 v[8:9], v[228:229], -v[232:233]
	v_add_f64 v[14:15], v[80:81], v[14:15]
	v_mul_f64 v[80:81], v[6:7], s[42:43]
	v_fma_f64 v[78:79], v[4:5], s[42:43], -v[78:79]
	v_add_f64 v[76:77], v[82:83], v[76:77]
	v_fma_f64 v[82:83], s[44:45], v[8:9], v[80:81]
	v_add_f64 v[12:13], v[78:79], v[12:13]
	v_fmac_f64_e32 v[80:81], s[40:41], v[8:9]
	v_mul_f64 v[78:79], v[10:11], s[38:39]
	v_add_f64 v[16:17], v[80:81], v[16:17]
	v_fma_f64 v[80:81], s[34:35], v[4:5], v[78:79]
	v_add_f64 v[28:29], v[80:81], v[28:29]
	v_mul_f64 v[80:81], v[6:7], s[34:35]
	v_fma_f64 v[78:79], v[4:5], s[34:35], -v[78:79]
	v_add_f64 v[32:33], v[82:83], v[32:33]
	v_fma_f64 v[82:83], s[26:27], v[8:9], v[80:81]
	v_add_f64 v[18:19], v[78:79], v[18:19]
	v_fmac_f64_e32 v[80:81], s[38:39], v[8:9]
	v_mul_f64 v[78:79], v[10:11], s[28:29]
	v_add_f64 v[30:31], v[80:81], v[30:31]
	v_fma_f64 v[80:81], s[30:31], v[4:5], v[78:79]
	v_add_f64 v[36:37], v[80:81], v[36:37]
	v_mul_f64 v[80:81], v[6:7], s[30:31]
	v_fma_f64 v[78:79], v[4:5], s[30:31], -v[78:79]
	v_add_f64 v[38:39], v[82:83], v[38:39]
	v_fma_f64 v[82:83], s[36:37], v[8:9], v[80:81]
	v_add_f64 v[34:35], v[78:79], v[34:35]
	v_fmac_f64_e32 v[80:81], s[28:29], v[8:9]
	v_mul_f64 v[78:79], v[10:11], s[46:47]
	v_add_f64 v[40:41], v[80:81], v[40:41]
	v_fma_f64 v[80:81], s[48:49], v[4:5], v[78:79]
	v_add_f64 v[44:45], v[80:81], v[44:45]
	v_mul_f64 v[80:81], v[6:7], s[48:49]
	v_fma_f64 v[78:79], v[4:5], s[48:49], -v[78:79]
	v_add_f64 v[46:47], v[82:83], v[46:47]
	v_fma_f64 v[82:83], s[50:51], v[8:9], v[80:81]
	v_add_f64 v[42:43], v[78:79], v[42:43]
	v_fmac_f64_e32 v[80:81], s[46:47], v[8:9]
	v_mul_f64 v[78:79], v[10:11], s[10:11]
	v_add_f64 v[48:49], v[80:81], v[48:49]
	v_fma_f64 v[80:81], s[8:9], v[4:5], v[78:79]
	v_add_f64 v[52:53], v[80:81], v[52:53]
	v_mul_f64 v[80:81], v[6:7], s[8:9]
	v_fma_f64 v[78:79], v[4:5], s[8:9], -v[78:79]
	v_add_f64 v[54:55], v[82:83], v[54:55]
	v_fma_f64 v[82:83], s[2:3], v[8:9], v[80:81]
	v_add_f64 v[50:51], v[78:79], v[50:51]
	v_fmac_f64_e32 v[80:81], s[10:11], v[8:9]
	v_mul_f64 v[78:79], v[10:11], s[20:21]
	v_add_f64 v[22:23], v[80:81], v[22:23]
	v_fma_f64 v[80:81], s[22:23], v[4:5], v[78:79]
	v_add_f64 v[58:59], v[80:81], v[58:59]
	v_mul_f64 v[80:81], v[6:7], s[22:23]
	v_fma_f64 v[78:79], v[4:5], s[22:23], -v[78:79]
	v_add_f64 v[62:63], v[82:83], v[62:63]
	v_fma_f64 v[82:83], s[24:25], v[8:9], v[80:81]
	v_add_f64 v[56:57], v[78:79], v[56:57]
	v_fmac_f64_e32 v[80:81], s[20:21], v[8:9]
	v_mul_f64 v[78:79], v[10:11], s[52:53]
	v_add_f64 v[60:61], v[80:81], v[60:61]
	v_fma_f64 v[80:81], s[54:55], v[4:5], v[78:79]
	v_fma_f64 v[78:79], v[4:5], s[54:55], -v[78:79]
	v_mul_f64 v[10:11], v[10:11], s[18:19]
	v_add_f64 v[66:67], v[80:81], v[66:67]
	v_mul_f64 v[80:81], v[6:7], s[54:55]
	v_add_f64 v[64:65], v[78:79], v[64:65]
	v_fma_f64 v[78:79], s[16:17], v[4:5], v[10:11]
	v_mul_f64 v[6:7], v[6:7], s[16:17]
	v_add_f64 v[72:73], v[78:79], v[72:73]
	v_fma_f64 v[78:79], s[14:15], v[8:9], v[6:7]
	v_fma_f64 v[4:5], v[4:5], s[16:17], -v[10:11]
	v_add_f64 v[10:11], v[222:223], -v[226:227]
	v_add_f64 v[68:69], v[82:83], v[68:69]
	v_fma_f64 v[82:83], s[56:57], v[8:9], v[80:81]
	v_fmac_f64_e32 v[80:81], s[52:53], v[8:9]
	v_add_f64 v[74:75], v[78:79], v[74:75]
	v_add_f64 v[0:1], v[4:5], v[0:1]
	v_fmac_f64_e32 v[6:7], s[18:19], v[8:9]
	v_add_f64 v[4:5], v[220:221], v[224:225]
	v_mul_f64 v[78:79], v[10:11], s[46:47]
	v_add_f64 v[70:71], v[80:81], v[70:71]
	v_add_f64 v[2:3], v[6:7], v[2:3]
	;; [unrolled: 1-line block ×3, first 2 shown]
	v_fma_f64 v[80:81], s[48:49], v[4:5], v[78:79]
	v_add_f64 v[8:9], v[220:221], -v[224:225]
	v_add_f64 v[14:15], v[80:81], v[14:15]
	v_mul_f64 v[80:81], v[6:7], s[48:49]
	v_fma_f64 v[78:79], v[4:5], s[48:49], -v[78:79]
	v_add_f64 v[76:77], v[82:83], v[76:77]
	v_fma_f64 v[82:83], s[50:51], v[8:9], v[80:81]
	v_add_f64 v[12:13], v[78:79], v[12:13]
	v_fmac_f64_e32 v[80:81], s[46:47], v[8:9]
	v_mul_f64 v[78:79], v[10:11], s[18:19]
	v_add_f64 v[16:17], v[80:81], v[16:17]
	v_fma_f64 v[80:81], s[16:17], v[4:5], v[78:79]
	v_add_f64 v[28:29], v[80:81], v[28:29]
	v_mul_f64 v[80:81], v[6:7], s[16:17]
	v_fma_f64 v[78:79], v[4:5], s[16:17], -v[78:79]
	v_add_f64 v[32:33], v[82:83], v[32:33]
	v_fma_f64 v[82:83], s[14:15], v[8:9], v[80:81]
	v_add_f64 v[18:19], v[78:79], v[18:19]
	v_fmac_f64_e32 v[80:81], s[18:19], v[8:9]
	v_mul_f64 v[78:79], v[10:11], s[2:3]
	v_add_f64 v[30:31], v[80:81], v[30:31]
	v_fma_f64 v[80:81], s[8:9], v[4:5], v[78:79]
	;; [unrolled: 10-line block ×6, first 2 shown]
	v_fma_f64 v[78:79], v[4:5], s[22:23], -v[78:79]
	v_mul_f64 v[10:11], v[10:11], s[26:27]
	v_add_f64 v[66:67], v[80:81], v[66:67]
	v_mul_f64 v[80:81], v[6:7], s[22:23]
	v_add_f64 v[64:65], v[78:79], v[64:65]
	v_fma_f64 v[78:79], s[34:35], v[4:5], v[10:11]
	v_mul_f64 v[6:7], v[6:7], s[34:35]
	v_add_f64 v[68:69], v[82:83], v[68:69]
	v_fma_f64 v[82:83], s[20:21], v[8:9], v[80:81]
	v_fmac_f64_e32 v[80:81], s[24:25], v[8:9]
	v_add_f64 v[72:73], v[78:79], v[72:73]
	v_fma_f64 v[78:79], s[38:39], v[8:9], v[6:7]
	v_fma_f64 v[4:5], v[4:5], s[34:35], -v[10:11]
	v_fmac_f64_e32 v[6:7], s[26:27], v[8:9]
	v_add_f64 v[84:85], v[214:215], v[218:219]
	v_add_f64 v[168:169], v[214:215], -v[218:219]
	v_add_f64 v[76:77], v[82:83], v[76:77]
	v_add_f64 v[70:71], v[80:81], v[70:71]
	v_add_f64 v[74:75], v[78:79], v[74:75]
	v_add_f64 v[78:79], v[4:5], v[0:1]
	v_add_f64 v[80:81], v[6:7], v[2:3]
	v_add_f64 v[82:83], v[212:213], v[216:217]
	v_add_f64 v[86:87], v[212:213], -v[216:217]
	v_mul_f64 v[4:5], v[168:169], s[52:53]
	v_mul_f64 v[6:7], v[84:85], s[54:55]
	v_fma_f64 v[0:1], s[54:55], v[82:83], v[4:5]
	v_fma_f64 v[2:3], s[56:57], v[86:87], v[6:7]
	v_fma_f64 v[4:5], v[82:83], s[54:55], -v[4:5]
	v_mul_f64 v[8:9], v[168:169], s[36:37]
	v_add_f64 v[2:3], v[2:3], v[32:33]
	v_add_f64 v[212:213], v[4:5], v[12:13]
	v_fma_f64 v[4:5], s[30:31], v[82:83], v[8:9]
	v_mul_f64 v[32:33], v[168:169], s[24:25]
	v_fmac_f64_e32 v[6:7], s[52:53], v[86:87]
	v_add_f64 v[4:5], v[4:5], v[28:29]
	v_mul_f64 v[10:11], v[84:85], s[30:31]
	v_fma_f64 v[28:29], s[22:23], v[82:83], v[32:33]
	v_fma_f64 v[32:33], v[82:83], s[22:23], -v[32:33]
	v_add_f64 v[214:215], v[6:7], v[16:17]
	v_fma_f64 v[6:7], s[28:29], v[86:87], v[10:11]
	v_fma_f64 v[8:9], v[82:83], s[30:31], -v[8:9]
	v_mul_f64 v[16:17], v[168:169], s[46:47]
	v_add_f64 v[32:33], v[32:33], v[42:43]
	v_mul_f64 v[42:43], v[84:85], s[42:43]
	v_add_f64 v[6:7], v[6:7], v[38:39]
	v_add_f64 v[8:9], v[8:9], v[18:19]
	v_fma_f64 v[12:13], s[48:49], v[82:83], v[16:17]
	v_mul_f64 v[18:19], v[84:85], s[48:49]
	v_fma_f64 v[16:17], v[82:83], s[48:49], -v[16:17]
	v_fma_f64 v[38:39], s[44:45], v[86:87], v[42:43]
	v_fmac_f64_e32 v[42:43], s[40:41], v[86:87]
	v_add_f64 v[0:1], v[0:1], v[14:15]
	v_fmac_f64_e32 v[10:11], s[36:37], v[86:87]
	v_fma_f64 v[14:15], s[50:51], v[86:87], v[18:19]
	v_add_f64 v[16:17], v[16:17], v[34:35]
	v_fmac_f64_e32 v[18:19], s[46:47], v[86:87]
	v_mul_f64 v[34:35], v[84:85], s[22:23]
	v_add_f64 v[42:43], v[42:43], v[22:23]
	v_mul_f64 v[22:23], v[168:169], s[18:19]
	v_add_f64 v[10:11], v[10:11], v[30:31]
	v_add_f64 v[18:19], v[18:19], v[40:41]
	;; [unrolled: 1-line block ×3, first 2 shown]
	v_fma_f64 v[30:31], s[20:21], v[86:87], v[34:35]
	v_fmac_f64_e32 v[34:35], s[24:25], v[86:87]
	v_mul_f64 v[40:41], v[168:169], s[40:41]
	v_fma_f64 v[44:45], s[16:17], v[82:83], v[22:23]
	v_fma_f64 v[22:23], v[82:83], s[16:17], -v[22:23]
	v_add_f64 v[12:13], v[12:13], v[36:37]
	v_add_f64 v[34:35], v[34:35], v[48:49]
	v_fma_f64 v[36:37], s[42:43], v[82:83], v[40:41]
	v_add_f64 v[48:49], v[22:23], v[56:57]
	v_mul_f64 v[22:23], v[168:169], s[26:27]
	v_add_f64 v[36:37], v[36:37], v[52:53]
	v_fma_f64 v[52:53], s[34:35], v[82:83], v[22:23]
	v_mul_f64 v[56:57], v[84:85], s[34:35]
	v_fma_f64 v[22:23], v[82:83], s[34:35], -v[22:23]
	v_add_f64 v[30:31], v[30:31], v[54:55]
	v_fma_f64 v[54:55], s[38:39], v[86:87], v[56:57]
	v_add_f64 v[216:217], v[22:23], v[64:65]
	v_fmac_f64_e32 v[56:57], s[26:27], v[86:87]
	v_mul_f64 v[22:23], v[168:169], s[10:11]
	v_add_f64 v[218:219], v[56:57], v[70:71]
	v_fma_f64 v[56:57], s[8:9], v[82:83], v[22:23]
	v_fma_f64 v[40:41], v[82:83], s[42:43], -v[40:41]
	v_add_f64 v[220:221], v[56:57], v[72:73]
	v_mul_f64 v[56:57], v[84:85], s[8:9]
	v_add_f64 v[40:41], v[40:41], v[50:51]
	v_add_f64 v[44:45], v[44:45], v[58:59]
	v_mul_f64 v[50:51], v[84:85], s[16:17]
	v_fma_f64 v[58:59], s[2:3], v[86:87], v[56:57]
	v_fma_f64 v[22:23], v[82:83], s[8:9], -v[22:23]
	v_fmac_f64_e32 v[56:57], s[10:11], v[86:87]
	v_add_f64 v[14:15], v[14:15], v[46:47]
	v_fma_f64 v[46:47], s[14:15], v[86:87], v[50:51]
	v_fmac_f64_e32 v[50:51], s[18:19], v[86:87]
	v_add_f64 v[222:223], v[58:59], v[74:75]
	v_add_f64 v[224:225], v[22:23], v[78:79]
	v_add_f64 v[226:227], v[56:57], v[80:81]
	v_add_f64 v[38:39], v[38:39], v[62:63]
	v_add_f64 v[46:47], v[46:47], v[68:69]
	v_add_f64 v[50:51], v[50:51], v[60:61]
	v_add_f64 v[52:53], v[52:53], v[66:67]
	v_add_f64 v[54:55], v[54:55], v[76:77]
	s_barrier
	ds_write_b128 v24, v[208:211]
	ds_write_b128 v24, v[0:3] offset:16
	ds_write_b128 v24, v[4:7] offset:32
	;; [unrolled: 1-line block ×16, first 2 shown]
	s_waitcnt lgkmcnt(0)
	s_barrier
	ds_read_b128 v[228:231], v21
	ds_read_b128 v[224:227], v21 offset:1088
	ds_read_b128 v[16:19], v21 offset:9248
	;; [unrolled: 1-line block ×15, first 2 shown]
	s_and_saveexec_b64 s[2:3], s[0:1]
	s_cbranch_execz .LBB0_11
; %bb.10:
	ds_read_b128 v[212:215], v21 offset:8704
	ds_read_b128 v[204:207], v21 offset:17952
.LBB0_11:
	s_or_b64 exec, exec, s[2:3]
	v_accvgpr_read_b32 v28, a74
	v_accvgpr_read_b32 v30, a76
	;; [unrolled: 1-line block ×4, first 2 shown]
	s_waitcnt lgkmcnt(13)
	v_mul_f64 v[22:23], v[30:31], v[18:19]
	v_fmac_f64_e32 v[22:23], v[28:29], v[16:17]
	v_mul_f64 v[16:17], v[30:31], v[16:17]
	v_accvgpr_read_b32 v30, a70
	v_accvgpr_read_b32 v32, a72
	;; [unrolled: 1-line block ×3, first 2 shown]
	v_fma_f64 v[16:17], v[28:29], v[18:19], -v[16:17]
	v_accvgpr_read_b32 v31, a71
	s_waitcnt lgkmcnt(12)
	v_mul_f64 v[28:29], v[32:33], v[14:15]
	v_fmac_f64_e32 v[28:29], v[30:31], v[12:13]
	v_mul_f64 v[12:13], v[32:33], v[12:13]
	v_accvgpr_read_b32 v32, a82
	v_accvgpr_read_b32 v34, a84
	;; [unrolled: 1-line block ×3, first 2 shown]
	v_fma_f64 v[30:31], v[30:31], v[14:15], -v[12:13]
	v_accvgpr_read_b32 v33, a83
	s_waitcnt lgkmcnt(9)
	v_mul_f64 v[36:37], v[34:35], v[254:255]
	v_mul_f64 v[12:13], v[34:35], v[252:253]
	v_fmac_f64_e32 v[36:37], v[32:33], v[252:253]
	v_fma_f64 v[38:39], v[32:33], v[254:255], -v[12:13]
	v_accvgpr_read_b32 v32, a78
	v_accvgpr_read_b32 v34, a80
	;; [unrolled: 1-line block ×4, first 2 shown]
	s_waitcnt lgkmcnt(8)
	v_mul_f64 v[44:45], v[34:35], v[250:251]
	v_mul_f64 v[12:13], v[34:35], v[248:249]
	v_fmac_f64_e32 v[44:45], v[32:33], v[248:249]
	v_fma_f64 v[46:47], v[32:33], v[250:251], -v[12:13]
	v_accvgpr_read_b32 v32, a86
	s_waitcnt lgkmcnt(5)
	v_mul_f64 v[12:13], v[90:91], v[244:245]
	v_accvgpr_read_b32 v34, a88
	v_accvgpr_read_b32 v35, a89
	v_fma_f64 v[54:55], v[88:89], v[246:247], -v[12:13]
	v_accvgpr_read_b32 v33, a87
	s_waitcnt lgkmcnt(4)
	v_mul_f64 v[12:13], v[34:35], v[240:241]
	v_fma_f64 v[58:59], v[32:33], v[242:243], -v[12:13]
	s_waitcnt lgkmcnt(1)
	v_mul_f64 v[12:13], v[98:99], v[236:237]
	v_fma_f64 v[62:63], v[96:97], v[238:239], -v[12:13]
	;; [unrolled: 3-line block ×3, first 2 shown]
	v_mul_f64 v[12:13], v[102:103], v[204:205]
	v_fma_f64 v[70:71], v[100:101], v[206:207], -v[12:13]
	v_add_f64 v[12:13], v[228:229], -v[22:23]
	v_add_f64 v[14:15], v[230:231], -v[16:17]
	v_mul_f64 v[56:57], v[34:35], v[242:243]
	v_fma_f64 v[16:17], v[228:229], 2.0, -v[12:13]
	v_fma_f64 v[18:19], v[230:231], 2.0, -v[14:15]
	v_add_f64 v[28:29], v[224:225], -v[28:29]
	v_add_f64 v[30:31], v[226:227], -v[30:31]
	v_accvgpr_read_b32 v22, a1
	v_mul_f64 v[52:53], v[90:91], v[246:247]
	v_fmac_f64_e32 v[56:57], v[32:33], v[240:241]
	v_fma_f64 v[32:33], v[224:225], 2.0, -v[28:29]
	v_fma_f64 v[34:35], v[226:227], 2.0, -v[30:31]
	v_add_f64 v[36:37], v[220:221], -v[36:37]
	v_add_f64 v[38:39], v[222:223], -v[38:39]
	s_barrier
	ds_write_b128 v22, v[16:19]
	ds_write_b128 v22, v[12:15] offset:272
	v_accvgpr_read_b32 v12, a90
	v_fmac_f64_e32 v[52:53], v[88:89], v[244:245]
	v_fma_f64 v[40:41], v[220:221], 2.0, -v[36:37]
	v_fma_f64 v[42:43], v[222:223], 2.0, -v[38:39]
	v_add_f64 v[44:45], v[216:217], -v[44:45]
	v_add_f64 v[46:47], v[218:219], -v[46:47]
	ds_write_b128 v12, v[32:35]
	ds_write_b128 v12, v[28:31] offset:272
	v_accvgpr_read_b32 v12, a91
	v_mul_f64 v[60:61], v[98:99], v[238:239]
	v_fma_f64 v[48:49], v[216:217], 2.0, -v[44:45]
	v_fma_f64 v[50:51], v[218:219], 2.0, -v[46:47]
	v_add_f64 v[52:53], v[208:209], -v[52:53]
	v_add_f64 v[54:55], v[210:211], -v[54:55]
	ds_write_b128 v12, v[40:43]
	ds_write_b128 v12, v[36:39] offset:272
	v_accvgpr_read_b32 v12, a92
	v_fmac_f64_e32 v[60:61], v[96:97], v[236:237]
	v_mul_f64 v[64:65], v[94:95], v[234:235]
	v_fma_f64 v[72:73], v[208:209], 2.0, -v[52:53]
	v_fma_f64 v[74:75], v[210:211], 2.0, -v[54:55]
	v_add_f64 v[76:77], v[8:9], -v[56:57]
	v_add_f64 v[78:79], v[10:11], -v[58:59]
	ds_write_b128 v12, v[48:51]
	ds_write_b128 v12, v[44:47] offset:272
	v_accvgpr_read_b32 v12, a93
	v_fmac_f64_e32 v[64:65], v[92:93], v[232:233]
	v_mul_f64 v[68:69], v[102:103], v[206:207]
	v_fma_f64 v[8:9], v[8:9], 2.0, -v[76:77]
	v_fma_f64 v[10:11], v[10:11], 2.0, -v[78:79]
	v_add_f64 v[80:81], v[4:5], -v[60:61]
	v_add_f64 v[82:83], v[6:7], -v[62:63]
	ds_write_b128 v12, v[72:75]
	ds_write_b128 v12, v[52:55] offset:272
	v_accvgpr_read_b32 v12, a95
	v_fmac_f64_e32 v[68:69], v[100:101], v[204:205]
	v_fma_f64 v[4:5], v[4:5], 2.0, -v[80:81]
	v_fma_f64 v[6:7], v[6:7], 2.0, -v[82:83]
	v_add_f64 v[84:85], v[0:1], -v[64:65]
	v_add_f64 v[86:87], v[2:3], -v[66:67]
	ds_write_b128 v12, v[8:11]
	ds_write_b128 v12, v[76:79] offset:272
	v_accvgpr_read_b32 v8, a96
	v_fma_f64 v[0:1], v[0:1], 2.0, -v[84:85]
	v_fma_f64 v[2:3], v[2:3], 2.0, -v[86:87]
	v_add_f64 v[68:69], v[212:213], -v[68:69]
	v_add_f64 v[70:71], v[214:215], -v[70:71]
	ds_write_b128 v8, v[4:7]
	ds_write_b128 v8, v[80:83] offset:272
	v_accvgpr_read_b32 v4, a97
	ds_write_b128 v4, v[0:3]
	ds_write_b128 v4, v[84:87] offset:272
	s_and_saveexec_b64 s[2:3], s[0:1]
	s_cbranch_execz .LBB0_13
; %bb.12:
	v_accvgpr_read_b32 v4, a94
	v_fma_f64 v[2:3], v[214:215], 2.0, -v[70:71]
	v_fma_f64 v[0:1], v[212:213], 2.0, -v[68:69]
	v_lshl_add_u32 v4, v4, 4, v26
	ds_write_b128 v4, v[0:3]
	ds_write_b128 v4, v[68:71] offset:272
.LBB0_13:
	s_or_b64 exec, exec, s[2:3]
	s_waitcnt lgkmcnt(0)
	s_barrier
	ds_read_b128 v[76:79], v21
	ds_read_b128 v[0:3], v21 offset:1088
	ds_read_b128 v[4:7], v21 offset:2176
	;; [unrolled: 1-line block ×16, first 2 shown]
	s_waitcnt lgkmcnt(14)
	v_mul_f64 v[22:23], v[118:119], v[2:3]
	v_fmac_f64_e32 v[22:23], v[116:117], v[0:1]
	v_mul_f64 v[0:1], v[118:119], v[0:1]
	v_fma_f64 v[56:57], v[116:117], v[2:3], -v[0:1]
	v_mul_f64 v[116:117], v[114:115], v[6:7]
	v_mul_f64 v[0:1], v[114:115], v[4:5]
	v_fmac_f64_e32 v[116:117], v[112:113], v[4:5]
	v_fma_f64 v[112:113], v[112:113], v[6:7], -v[0:1]
	s_waitcnt lgkmcnt(13)
	v_mul_f64 v[0:1], v[110:111], v[8:9]
	v_fma_f64 v[102:103], v[108:109], v[10:11], -v[0:1]
	s_waitcnt lgkmcnt(12)
	v_mul_f64 v[0:1], v[106:107], v[12:13]
	;; [unrolled: 3-line block ×4, first 2 shown]
	v_mul_f64 v[84:85], v[134:135], v[18:19]
	v_fma_f64 v[18:19], v[128:129], v[30:31], -v[0:1]
	s_waitcnt lgkmcnt(9)
	v_mul_f64 v[0:1], v[126:127], v[32:33]
	s_waitcnt lgkmcnt(8)
	v_mul_f64 v[2:3], v[122:123], v[36:37]
	v_mul_f64 v[100:101], v[110:111], v[10:11]
	v_fma_f64 v[10:11], v[124:125], v[34:35], -v[0:1]
	v_mul_f64 v[0:1], v[122:123], v[38:39]
	v_fma_f64 v[2:3], v[120:121], v[38:39], -v[2:3]
	v_add_f64 v[38:39], v[78:79], v[56:57]
	v_fmac_f64_e32 v[0:1], v[120:121], v[36:37]
	v_add_f64 v[36:37], v[76:77], v[22:23]
	v_add_f64 v[38:39], v[38:39], v[112:113]
	v_fmac_f64_e32 v[100:101], v[108:109], v[8:9]
	v_mul_f64 v[92:93], v[106:107], v[14:15]
	v_add_f64 v[36:37], v[36:37], v[116:117]
	v_add_f64 v[38:39], v[38:39], v[102:103]
	v_fmac_f64_e32 v[92:93], v[104:105], v[12:13]
	v_add_f64 v[36:37], v[36:37], v[100:101]
	v_add_f64 v[38:39], v[38:39], v[94:95]
	v_fmac_f64_e32 v[84:85], v[132:133], v[16:17]
	v_mul_f64 v[16:17], v[130:131], v[30:31]
	v_add_f64 v[36:37], v[36:37], v[92:93]
	v_add_f64 v[38:39], v[38:39], v[86:87]
	v_fmac_f64_e32 v[16:17], v[128:129], v[28:29]
	v_mul_f64 v[8:9], v[126:127], v[34:35]
	v_add_f64 v[36:37], v[36:37], v[84:85]
	v_add_f64 v[38:39], v[38:39], v[18:19]
	v_fmac_f64_e32 v[8:9], v[124:125], v[32:33]
	s_waitcnt lgkmcnt(7)
	v_mul_f64 v[6:7], v[150:151], v[40:41]
	v_add_f64 v[36:37], v[36:37], v[16:17]
	v_add_f64 v[38:39], v[38:39], v[10:11]
	v_mul_f64 v[4:5], v[150:151], v[42:43]
	v_fma_f64 v[6:7], v[148:149], v[42:43], -v[6:7]
	s_waitcnt lgkmcnt(6)
	v_mul_f64 v[14:15], v[146:147], v[44:45]
	v_add_f64 v[36:37], v[36:37], v[8:9]
	v_add_f64 v[38:39], v[38:39], v[2:3]
	v_fmac_f64_e32 v[4:5], v[148:149], v[40:41]
	v_mul_f64 v[12:13], v[146:147], v[46:47]
	v_fma_f64 v[14:15], v[144:145], v[46:47], -v[14:15]
	s_waitcnt lgkmcnt(5)
	v_mul_f64 v[28:29], v[142:143], v[48:49]
	v_add_f64 v[36:37], v[36:37], v[0:1]
	v_add_f64 v[38:39], v[38:39], v[6:7]
	v_fmac_f64_e32 v[12:13], v[144:145], v[44:45]
	;; [unrolled: 7-line block ×7, first 2 shown]
	v_mul_f64 v[32:33], v[154:155], v[214:215]
	v_fma_f64 v[34:35], v[152:153], v[214:215], -v[34:35]
	v_add_f64 v[36:37], v[36:37], v[104:105]
	v_add_f64 v[38:39], v[38:39], v[30:31]
	v_fmac_f64_e32 v[32:33], v[152:153], v[212:213]
	v_add_f64 v[36:37], v[36:37], v[28:29]
	v_add_f64 v[74:75], v[38:39], v[34:35]
	;; [unrolled: 1-line block ×3, first 2 shown]
	s_mov_b32 s2, 0xeb564b22
	v_add_f64 v[72:73], v[36:37], v[32:33]
	v_add_f64 v[36:37], v[22:23], v[32:33]
	v_add_f64 v[22:23], v[22:23], -v[32:33]
	v_add_f64 v[32:33], v[56:57], -v[34:35]
	v_mul_f64 v[42:43], v[38:39], s[30:31]
	v_mul_f64 v[50:51], v[38:39], s[22:23]
	;; [unrolled: 1-line block ×3, first 2 shown]
	s_mov_b32 s3, 0xbfefdd0d
	v_mul_f64 v[66:67], v[38:39], s[8:9]
	v_mul_f64 v[118:119], v[38:39], s[34:35]
	;; [unrolled: 1-line block ×5, first 2 shown]
	s_mov_b32 s56, s52
	v_mul_f64 v[34:35], v[32:33], s[28:29]
	s_mov_b32 s36, s28
	v_mul_f64 v[46:47], v[32:33], s[20:21]
	;; [unrolled: 2-line block ×8, first 2 shown]
	v_fma_f64 v[140:141], s[56:57], v[22:23], v[38:39]
	v_fmac_f64_e32 v[38:39], s[52:53], v[22:23]
	v_fma_f64 v[40:41], s[30:31], v[36:37], v[34:35]
	v_fma_f64 v[44:45], s[36:37], v[22:23], v[42:43]
	v_fma_f64 v[34:35], v[36:37], s[30:31], -v[34:35]
	v_fmac_f64_e32 v[42:43], s[28:29], v[22:23]
	v_fma_f64 v[48:49], s[22:23], v[36:37], v[46:47]
	v_fma_f64 v[52:53], s[24:25], v[22:23], v[50:51]
	v_fma_f64 v[46:47], v[36:37], s[22:23], -v[46:47]
	;; [unrolled: 4-line block ×7, first 2 shown]
	v_fmac_f64_e32 v[134:135], s[46:47], v[22:23]
	v_fma_f64 v[138:139], s[54:55], v[36:37], v[32:33]
	v_fma_f64 v[32:33], v[36:37], s[54:55], -v[32:33]
	v_add_f64 v[22:23], v[78:79], v[38:39]
	v_add_f64 v[38:39], v[112:113], v[30:31]
	v_add_f64 v[30:31], v[112:113], -v[30:31]
	v_add_f64 v[40:41], v[76:77], v[40:41]
	v_add_f64 v[34:35], v[76:77], v[34:35]
	;; [unrolled: 1-line block ×17, first 2 shown]
	v_mul_f64 v[76:77], v[30:31], s[20:21]
	v_add_f64 v[44:45], v[78:79], v[44:45]
	v_add_f64 v[42:43], v[78:79], v[42:43]
	;; [unrolled: 1-line block ×15, first 2 shown]
	v_fma_f64 v[78:79], s[22:23], v[36:37], v[76:77]
	v_add_f64 v[28:29], v[116:117], -v[28:29]
	v_add_f64 v[40:41], v[78:79], v[40:41]
	v_mul_f64 v[78:79], v[38:39], s[22:23]
	v_fma_f64 v[76:77], v[36:37], s[22:23], -v[76:77]
	v_fma_f64 v[112:113], s[24:25], v[28:29], v[78:79]
	v_add_f64 v[34:35], v[76:77], v[34:35]
	v_fmac_f64_e32 v[78:79], s[20:21], v[28:29]
	v_mul_f64 v[76:77], v[30:31], s[2:3]
	v_add_f64 v[42:43], v[78:79], v[42:43]
	v_fma_f64 v[78:79], s[8:9], v[36:37], v[76:77]
	v_add_f64 v[48:49], v[78:79], v[48:49]
	v_mul_f64 v[78:79], v[38:39], s[8:9]
	v_fma_f64 v[76:77], v[36:37], s[8:9], -v[76:77]
	v_add_f64 v[44:45], v[112:113], v[44:45]
	v_fma_f64 v[112:113], s[10:11], v[28:29], v[78:79]
	v_add_f64 v[46:47], v[76:77], v[46:47]
	v_fmac_f64_e32 v[78:79], s[2:3], v[28:29]
	v_mul_f64 v[76:77], v[30:31], s[40:41]
	v_add_f64 v[50:51], v[78:79], v[50:51]
	v_fma_f64 v[78:79], s[42:43], v[36:37], v[76:77]
	v_add_f64 v[56:57], v[78:79], v[56:57]
	v_mul_f64 v[78:79], v[38:39], s[42:43]
	v_fma_f64 v[76:77], v[36:37], s[42:43], -v[76:77]
	v_add_f64 v[52:53], v[112:113], v[52:53]
	;; [unrolled: 10-line block ×3, first 2 shown]
	v_fma_f64 v[112:113], s[56:57], v[28:29], v[78:79]
	v_add_f64 v[62:63], v[76:77], v[62:63]
	v_fmac_f64_e32 v[78:79], s[52:53], v[28:29]
	v_mul_f64 v[76:77], v[30:31], s[50:51]
	v_add_f64 v[108:109], v[112:113], v[108:109]
	v_add_f64 v[66:67], v[78:79], v[66:67]
	v_fma_f64 v[78:79], s[48:49], v[36:37], v[76:77]
	v_mul_f64 v[112:113], v[38:39], s[48:49]
	v_add_f64 v[78:79], v[78:79], v[114:115]
	v_fma_f64 v[114:115], s[46:47], v[28:29], v[112:113]
	v_fma_f64 v[76:77], v[36:37], s[48:49], -v[76:77]
	v_fmac_f64_e32 v[112:113], s[50:51], v[28:29]
	v_add_f64 v[76:77], v[76:77], v[110:111]
	v_add_f64 v[110:111], v[112:113], v[118:119]
	v_mul_f64 v[112:113], v[30:31], s[38:39]
	v_fma_f64 v[116:117], s[34:35], v[36:37], v[112:113]
	v_mul_f64 v[118:119], v[38:39], s[34:35]
	v_fma_f64 v[112:113], v[36:37], s[34:35], -v[112:113]
	v_add_f64 v[114:115], v[114:115], v[120:121]
	v_fma_f64 v[120:121], s[26:27], v[28:29], v[118:119]
	v_add_f64 v[112:113], v[112:113], v[122:123]
	v_fmac_f64_e32 v[118:119], s[38:39], v[28:29]
	v_mul_f64 v[122:123], v[30:31], s[18:19]
	v_add_f64 v[116:117], v[116:117], v[124:125]
	v_add_f64 v[118:119], v[118:119], v[126:127]
	v_fma_f64 v[124:125], s[16:17], v[36:37], v[122:123]
	v_mul_f64 v[126:127], v[38:39], s[16:17]
	v_mul_f64 v[38:39], v[38:39], s[30:31]
	v_add_f64 v[124:125], v[124:125], v[132:133]
	v_fma_f64 v[132:133], s[28:29], v[28:29], v[38:39]
	v_fmac_f64_e32 v[38:39], s[36:37], v[28:29]
	v_fma_f64 v[122:123], v[36:37], s[16:17], -v[122:123]
	v_mul_f64 v[30:31], v[30:31], s[36:37]
	v_add_f64 v[22:23], v[38:39], v[22:23]
	v_add_f64 v[38:39], v[102:103], -v[106:107]
	v_add_f64 v[120:121], v[120:121], v[128:129]
	v_fma_f64 v[128:129], s[14:15], v[28:29], v[126:127]
	v_add_f64 v[122:123], v[122:123], v[130:131]
	v_fmac_f64_e32 v[126:127], s[18:19], v[28:29]
	v_fma_f64 v[130:131], s[30:31], v[36:37], v[30:31]
	v_fma_f64 v[30:31], v[36:37], s[30:31], -v[30:31]
	v_add_f64 v[28:29], v[100:101], v[104:105]
	v_add_f64 v[36:37], v[100:101], -v[104:105]
	v_mul_f64 v[100:101], v[38:39], s[14:15]
	v_add_f64 v[30:31], v[30:31], v[32:33]
	v_add_f64 v[32:33], v[102:103], v[106:107]
	v_fma_f64 v[102:103], s[16:17], v[28:29], v[100:101]
	v_add_f64 v[40:41], v[102:103], v[40:41]
	v_mul_f64 v[102:103], v[32:33], s[16:17]
	v_fma_f64 v[100:101], v[28:29], s[16:17], -v[100:101]
	v_fma_f64 v[104:105], s[18:19], v[36:37], v[102:103]
	v_add_f64 v[34:35], v[100:101], v[34:35]
	v_fmac_f64_e32 v[102:103], s[14:15], v[36:37]
	v_mul_f64 v[100:101], v[38:39], s[40:41]
	v_add_f64 v[42:43], v[102:103], v[42:43]
	v_fma_f64 v[102:103], s[42:43], v[28:29], v[100:101]
	v_add_f64 v[48:49], v[102:103], v[48:49]
	v_mul_f64 v[102:103], v[32:33], s[42:43]
	v_fma_f64 v[100:101], v[28:29], s[42:43], -v[100:101]
	v_add_f64 v[44:45], v[104:105], v[44:45]
	v_fma_f64 v[104:105], s[44:45], v[36:37], v[102:103]
	v_add_f64 v[46:47], v[100:101], v[46:47]
	v_fmac_f64_e32 v[102:103], s[40:41], v[36:37]
	v_mul_f64 v[100:101], v[38:39], s[56:57]
	v_add_f64 v[50:51], v[102:103], v[50:51]
	v_fma_f64 v[102:103], s[54:55], v[28:29], v[100:101]
	v_add_f64 v[56:57], v[102:103], v[56:57]
	v_mul_f64 v[102:103], v[32:33], s[54:55]
	v_fma_f64 v[100:101], v[28:29], s[54:55], -v[100:101]
	v_add_f64 v[52:53], v[104:105], v[52:53]
	;; [unrolled: 10-line block ×3, first 2 shown]
	v_fma_f64 v[104:105], s[26:27], v[36:37], v[102:103]
	v_add_f64 v[62:63], v[100:101], v[62:63]
	v_fmac_f64_e32 v[102:103], s[38:39], v[36:37]
	v_mul_f64 v[100:101], v[38:39], s[24:25]
	v_add_f64 v[66:67], v[102:103], v[66:67]
	v_fma_f64 v[102:103], s[22:23], v[28:29], v[100:101]
	v_add_f64 v[78:79], v[102:103], v[78:79]
	v_mul_f64 v[102:103], v[32:33], s[22:23]
	v_fma_f64 v[106:107], s[20:21], v[36:37], v[102:103]
	v_fma_f64 v[100:101], v[28:29], s[22:23], -v[100:101]
	v_fmac_f64_e32 v[102:103], s[24:25], v[36:37]
	v_add_f64 v[76:77], v[100:101], v[76:77]
	v_add_f64 v[100:101], v[102:103], v[110:111]
	v_mul_f64 v[102:103], v[38:39], s[28:29]
	v_add_f64 v[104:105], v[104:105], v[108:109]
	v_fma_f64 v[108:109], s[30:31], v[28:29], v[102:103]
	v_fma_f64 v[102:103], v[28:29], s[30:31], -v[102:103]
	v_mul_f64 v[110:111], v[32:33], s[30:31]
	v_add_f64 v[102:103], v[102:103], v[112:113]
	v_mul_f64 v[112:113], v[38:39], s[2:3]
	v_add_f64 v[106:107], v[106:107], v[114:115]
	v_add_f64 v[108:109], v[108:109], v[116:117]
	v_fma_f64 v[114:115], s[36:37], v[36:37], v[110:111]
	v_fmac_f64_e32 v[110:111], s[28:29], v[36:37]
	v_fma_f64 v[116:117], s[8:9], v[28:29], v[112:113]
	v_fma_f64 v[112:113], v[28:29], s[8:9], -v[112:113]
	v_mul_f64 v[38:39], v[38:39], s[46:47]
	v_add_f64 v[110:111], v[110:111], v[118:119]
	v_mul_f64 v[118:119], v[32:33], s[8:9]
	v_add_f64 v[112:113], v[112:113], v[122:123]
	v_fma_f64 v[122:123], s[48:49], v[28:29], v[38:39]
	v_mul_f64 v[32:33], v[32:33], s[48:49]
	v_fma_f64 v[28:29], v[28:29], s[48:49], -v[38:39]
	v_add_f64 v[38:39], v[94:95], -v[98:99]
	v_add_f64 v[114:115], v[114:115], v[120:121]
	v_add_f64 v[116:117], v[116:117], v[124:125]
	v_fma_f64 v[120:121], s[10:11], v[36:37], v[118:119]
	v_fmac_f64_e32 v[118:119], s[2:3], v[36:37]
	v_fma_f64 v[124:125], s[50:51], v[36:37], v[32:33]
	v_add_f64 v[28:29], v[28:29], v[30:31]
	v_fmac_f64_e32 v[32:33], s[46:47], v[36:37]
	v_add_f64 v[30:31], v[92:93], v[96:97]
	v_add_f64 v[36:37], v[92:93], -v[96:97]
	v_mul_f64 v[92:93], v[38:39], s[2:3]
	v_add_f64 v[22:23], v[32:33], v[22:23]
	v_add_f64 v[32:33], v[94:95], v[98:99]
	v_fma_f64 v[94:95], s[8:9], v[30:31], v[92:93]
	v_add_f64 v[40:41], v[94:95], v[40:41]
	v_mul_f64 v[94:95], v[32:33], s[8:9]
	v_fma_f64 v[92:93], v[30:31], s[8:9], -v[92:93]
	v_fma_f64 v[96:97], s[10:11], v[36:37], v[94:95]
	v_add_f64 v[34:35], v[92:93], v[34:35]
	v_fmac_f64_e32 v[94:95], s[2:3], v[36:37]
	v_mul_f64 v[92:93], v[38:39], s[52:53]
	v_add_f64 v[42:43], v[94:95], v[42:43]
	v_fma_f64 v[94:95], s[54:55], v[30:31], v[92:93]
	v_add_f64 v[48:49], v[94:95], v[48:49]
	v_mul_f64 v[94:95], v[32:33], s[54:55]
	v_fma_f64 v[92:93], v[30:31], s[54:55], -v[92:93]
	v_add_f64 v[44:45], v[96:97], v[44:45]
	v_fma_f64 v[96:97], s[56:57], v[36:37], v[94:95]
	v_add_f64 v[46:47], v[92:93], v[46:47]
	v_fmac_f64_e32 v[94:95], s[52:53], v[36:37]
	v_mul_f64 v[92:93], v[38:39], s[38:39]
	v_add_f64 v[50:51], v[94:95], v[50:51]
	v_fma_f64 v[94:95], s[34:35], v[30:31], v[92:93]
	v_add_f64 v[56:57], v[94:95], v[56:57]
	v_mul_f64 v[94:95], v[32:33], s[34:35]
	v_fma_f64 v[92:93], v[30:31], s[34:35], -v[92:93]
	v_add_f64 v[52:53], v[96:97], v[52:53]
	;; [unrolled: 10-line block ×3, first 2 shown]
	v_fma_f64 v[96:97], s[28:29], v[36:37], v[94:95]
	v_add_f64 v[62:63], v[92:93], v[62:63]
	v_fmac_f64_e32 v[94:95], s[36:37], v[36:37]
	v_mul_f64 v[92:93], v[38:39], s[14:15]
	v_add_f64 v[66:67], v[94:95], v[66:67]
	v_fma_f64 v[94:95], s[16:17], v[30:31], v[92:93]
	v_add_f64 v[78:79], v[94:95], v[78:79]
	v_mul_f64 v[94:95], v[32:33], s[16:17]
	v_fma_f64 v[98:99], s[18:19], v[36:37], v[94:95]
	v_fma_f64 v[92:93], v[30:31], s[16:17], -v[92:93]
	v_fmac_f64_e32 v[94:95], s[14:15], v[36:37]
	v_add_f64 v[96:97], v[96:97], v[104:105]
	v_add_f64 v[76:77], v[92:93], v[76:77]
	;; [unrolled: 1-line block ×3, first 2 shown]
	v_mul_f64 v[94:95], v[38:39], s[46:47]
	v_mul_f64 v[104:105], v[32:33], s[48:49]
	v_add_f64 v[98:99], v[98:99], v[106:107]
	v_fma_f64 v[100:101], s[48:49], v[30:31], v[94:95]
	v_fma_f64 v[106:107], s[50:51], v[36:37], v[104:105]
	v_fma_f64 v[94:95], v[30:31], s[48:49], -v[94:95]
	v_fmac_f64_e32 v[104:105], s[46:47], v[36:37]
	v_add_f64 v[94:95], v[94:95], v[102:103]
	v_add_f64 v[102:103], v[104:105], v[110:111]
	v_mul_f64 v[104:105], v[38:39], s[44:45]
	v_add_f64 v[100:101], v[100:101], v[108:109]
	v_fma_f64 v[108:109], s[42:43], v[30:31], v[104:105]
	v_fma_f64 v[104:105], v[30:31], s[42:43], -v[104:105]
	v_mul_f64 v[38:39], v[38:39], s[24:25]
	v_mul_f64 v[110:111], v[32:33], s[42:43]
	v_add_f64 v[104:105], v[104:105], v[112:113]
	v_fma_f64 v[112:113], s[22:23], v[30:31], v[38:39]
	v_mul_f64 v[32:33], v[32:33], s[22:23]
	v_fma_f64 v[30:31], v[30:31], s[22:23], -v[38:39]
	v_add_f64 v[38:39], v[86:87], -v[90:91]
	v_add_f64 v[106:107], v[106:107], v[114:115]
	v_add_f64 v[108:109], v[108:109], v[116:117]
	v_fma_f64 v[114:115], s[40:41], v[36:37], v[110:111]
	v_fmac_f64_e32 v[110:111], s[44:45], v[36:37]
	v_fma_f64 v[116:117], s[20:21], v[36:37], v[32:33]
	v_add_f64 v[28:29], v[30:31], v[28:29]
	v_fmac_f64_e32 v[32:33], s[24:25], v[36:37]
	v_add_f64 v[30:31], v[84:85], v[88:89]
	v_add_f64 v[36:37], v[84:85], -v[88:89]
	v_mul_f64 v[84:85], v[38:39], s[26:27]
	v_add_f64 v[22:23], v[32:33], v[22:23]
	v_add_f64 v[32:33], v[86:87], v[90:91]
	v_fma_f64 v[86:87], s[34:35], v[30:31], v[84:85]
	v_add_f64 v[40:41], v[86:87], v[40:41]
	v_mul_f64 v[86:87], v[32:33], s[34:35]
	v_fma_f64 v[84:85], v[30:31], s[34:35], -v[84:85]
	v_fma_f64 v[88:89], s[38:39], v[36:37], v[86:87]
	v_add_f64 v[34:35], v[84:85], v[34:35]
	v_fmac_f64_e32 v[86:87], s[26:27], v[36:37]
	v_mul_f64 v[84:85], v[38:39], s[50:51]
	v_add_f64 v[42:43], v[86:87], v[42:43]
	v_fma_f64 v[86:87], s[48:49], v[30:31], v[84:85]
	v_add_f64 v[48:49], v[86:87], v[48:49]
	v_mul_f64 v[86:87], v[32:33], s[48:49]
	v_fma_f64 v[84:85], v[30:31], s[48:49], -v[84:85]
	v_add_f64 v[44:45], v[88:89], v[44:45]
	v_fma_f64 v[88:89], s[46:47], v[36:37], v[86:87]
	v_add_f64 v[46:47], v[84:85], v[46:47]
	v_fmac_f64_e32 v[86:87], s[50:51], v[36:37]
	v_mul_f64 v[84:85], v[38:39], s[24:25]
	v_add_f64 v[50:51], v[86:87], v[50:51]
	v_fma_f64 v[86:87], s[22:23], v[30:31], v[84:85]
	v_add_f64 v[56:57], v[86:87], v[56:57]
	v_mul_f64 v[86:87], v[32:33], s[22:23]
	v_fma_f64 v[84:85], v[30:31], s[22:23], -v[84:85]
	v_add_f64 v[52:53], v[88:89], v[52:53]
	;; [unrolled: 10-line block ×3, first 2 shown]
	v_fma_f64 v[88:89], s[18:19], v[36:37], v[86:87]
	v_add_f64 v[62:63], v[84:85], v[62:63]
	v_fmac_f64_e32 v[86:87], s[14:15], v[36:37]
	v_mul_f64 v[84:85], v[38:39], s[52:53]
	v_add_f64 v[66:67], v[86:87], v[66:67]
	v_fma_f64 v[86:87], s[54:55], v[30:31], v[84:85]
	v_add_f64 v[78:79], v[86:87], v[78:79]
	v_mul_f64 v[86:87], v[32:33], s[54:55]
	v_fma_f64 v[90:91], s[56:57], v[36:37], v[86:87]
	v_fma_f64 v[84:85], v[30:31], s[54:55], -v[84:85]
	v_fmac_f64_e32 v[86:87], s[52:53], v[36:37]
	v_add_f64 v[88:89], v[88:89], v[96:97]
	v_add_f64 v[76:77], v[84:85], v[76:77]
	;; [unrolled: 1-line block ×3, first 2 shown]
	v_mul_f64 v[86:87], v[38:39], s[10:11]
	v_mul_f64 v[96:97], v[32:33], s[8:9]
	v_add_f64 v[90:91], v[90:91], v[98:99]
	v_fma_f64 v[92:93], s[8:9], v[30:31], v[86:87]
	v_fma_f64 v[98:99], s[2:3], v[36:37], v[96:97]
	v_fma_f64 v[86:87], v[30:31], s[8:9], -v[86:87]
	v_fmac_f64_e32 v[96:97], s[10:11], v[36:37]
	v_add_f64 v[86:87], v[86:87], v[94:95]
	v_add_f64 v[94:95], v[96:97], v[102:103]
	v_mul_f64 v[96:97], v[38:39], s[28:29]
	v_add_f64 v[92:93], v[92:93], v[100:101]
	v_fma_f64 v[100:101], s[30:31], v[30:31], v[96:97]
	v_mul_f64 v[102:103], v[32:33], s[30:31]
	v_mul_f64 v[32:33], v[32:33], s[42:43]
	v_add_f64 v[100:101], v[100:101], v[108:109]
	v_fma_f64 v[96:97], v[30:31], s[30:31], -v[96:97]
	v_mul_f64 v[38:39], v[38:39], s[40:41]
	v_fma_f64 v[108:109], s[44:45], v[36:37], v[32:33]
	v_fmac_f64_e32 v[32:33], s[40:41], v[36:37]
	v_add_f64 v[96:97], v[96:97], v[104:105]
	v_fma_f64 v[104:105], s[42:43], v[30:31], v[38:39]
	v_fma_f64 v[30:31], v[30:31], s[42:43], -v[38:39]
	v_add_f64 v[22:23], v[32:33], v[22:23]
	v_add_f64 v[32:33], v[18:19], v[82:83]
	v_add_f64 v[18:19], v[18:19], -v[82:83]
	v_add_f64 v[98:99], v[98:99], v[106:107]
	v_fma_f64 v[106:107], s[36:37], v[36:37], v[102:103]
	v_fmac_f64_e32 v[102:103], s[28:29], v[36:37]
	v_add_f64 v[28:29], v[30:31], v[28:29]
	v_add_f64 v[30:31], v[16:17], v[80:81]
	v_mul_f64 v[36:37], v[18:19], s[40:41]
	v_fma_f64 v[38:39], s[42:43], v[30:31], v[36:37]
	v_add_f64 v[16:17], v[16:17], -v[80:81]
	v_add_f64 v[38:39], v[38:39], v[40:41]
	v_mul_f64 v[40:41], v[32:33], s[42:43]
	v_fma_f64 v[80:81], s[44:45], v[16:17], v[40:41]
	v_fma_f64 v[36:37], v[30:31], s[42:43], -v[36:37]
	v_fmac_f64_e32 v[40:41], s[40:41], v[16:17]
	v_add_f64 v[34:35], v[36:37], v[34:35]
	v_add_f64 v[36:37], v[40:41], v[42:43]
	v_mul_f64 v[40:41], v[18:19], s[38:39]
	v_fma_f64 v[42:43], s[34:35], v[30:31], v[40:41]
	v_add_f64 v[42:43], v[42:43], v[48:49]
	v_mul_f64 v[48:49], v[32:33], s[34:35]
	v_add_f64 v[44:45], v[80:81], v[44:45]
	v_fma_f64 v[80:81], s[26:27], v[16:17], v[48:49]
	v_fma_f64 v[40:41], v[30:31], s[34:35], -v[40:41]
	v_fmac_f64_e32 v[48:49], s[38:39], v[16:17]
	v_add_f64 v[40:41], v[40:41], v[46:47]
	v_add_f64 v[46:47], v[48:49], v[50:51]
	v_mul_f64 v[48:49], v[18:19], s[28:29]
	v_fma_f64 v[50:51], s[30:31], v[30:31], v[48:49]
	v_add_f64 v[50:51], v[50:51], v[56:57]
	v_mul_f64 v[56:57], v[32:33], s[30:31]
	v_add_f64 v[52:53], v[80:81], v[52:53]
	;; [unrolled: 10-line block ×3, first 2 shown]
	v_fma_f64 v[80:81], s[50:51], v[16:17], v[64:65]
	v_fma_f64 v[56:57], v[30:31], s[48:49], -v[56:57]
	v_fmac_f64_e32 v[64:65], s[46:47], v[16:17]
	v_add_f64 v[56:57], v[56:57], v[62:63]
	v_add_f64 v[62:63], v[64:65], v[66:67]
	v_mul_f64 v[64:65], v[18:19], s[10:11]
	v_fma_f64 v[66:67], s[8:9], v[30:31], v[64:65]
	v_add_f64 v[66:67], v[66:67], v[78:79]
	v_mul_f64 v[78:79], v[32:33], s[8:9]
	v_fma_f64 v[82:83], s[2:3], v[16:17], v[78:79]
	v_fma_f64 v[64:65], v[30:31], s[8:9], -v[64:65]
	v_fmac_f64_e32 v[78:79], s[10:11], v[16:17]
	v_add_f64 v[80:81], v[80:81], v[88:89]
	v_add_f64 v[64:65], v[64:65], v[76:77]
	;; [unrolled: 1-line block ×3, first 2 shown]
	v_mul_f64 v[78:79], v[18:19], s[20:21]
	v_mul_f64 v[88:89], v[32:33], s[22:23]
	v_add_f64 v[82:83], v[82:83], v[90:91]
	v_fma_f64 v[84:85], s[22:23], v[30:31], v[78:79]
	v_fma_f64 v[90:91], s[24:25], v[16:17], v[88:89]
	v_fma_f64 v[78:79], v[30:31], s[22:23], -v[78:79]
	v_fmac_f64_e32 v[88:89], s[20:21], v[16:17]
	v_add_f64 v[78:79], v[78:79], v[86:87]
	v_add_f64 v[86:87], v[88:89], v[94:95]
	v_mul_f64 v[88:89], v[18:19], s[52:53]
	v_add_f64 v[84:85], v[84:85], v[92:93]
	v_fma_f64 v[92:93], s[54:55], v[30:31], v[88:89]
	v_fma_f64 v[88:89], v[30:31], s[54:55], -v[88:89]
	v_mul_f64 v[18:19], v[18:19], s[18:19]
	v_mul_f64 v[94:95], v[32:33], s[54:55]
	v_add_f64 v[88:89], v[88:89], v[96:97]
	v_fma_f64 v[96:97], s[16:17], v[30:31], v[18:19]
	v_mul_f64 v[32:33], v[32:33], s[16:17]
	v_fma_f64 v[18:19], v[30:31], s[16:17], -v[18:19]
	v_add_f64 v[92:93], v[92:93], v[100:101]
	v_fma_f64 v[100:101], s[14:15], v[16:17], v[32:33]
	v_add_f64 v[18:19], v[18:19], v[28:29]
	v_fmac_f64_e32 v[32:33], s[18:19], v[16:17]
	v_add_f64 v[28:29], v[10:11], v[14:15]
	v_add_f64 v[10:11], v[10:11], -v[14:15]
	v_add_f64 v[90:91], v[90:91], v[98:99]
	v_fma_f64 v[98:99], s[56:57], v[16:17], v[94:95]
	v_fmac_f64_e32 v[94:95], s[52:53], v[16:17]
	v_add_f64 v[16:17], v[32:33], v[22:23]
	v_add_f64 v[22:23], v[8:9], v[12:13]
	v_add_f64 v[8:9], v[8:9], -v[12:13]
	v_mul_f64 v[12:13], v[10:11], s[46:47]
	v_fma_f64 v[14:15], s[48:49], v[22:23], v[12:13]
	v_mul_f64 v[30:31], v[28:29], s[48:49]
	v_fma_f64 v[12:13], v[22:23], s[48:49], -v[12:13]
	v_fma_f64 v[32:33], s[50:51], v[8:9], v[30:31]
	v_add_f64 v[12:13], v[12:13], v[34:35]
	v_fmac_f64_e32 v[30:31], s[46:47], v[8:9]
	v_mul_f64 v[34:35], v[10:11], s[18:19]
	v_add_f64 v[14:15], v[14:15], v[38:39]
	v_add_f64 v[30:31], v[30:31], v[36:37]
	v_fma_f64 v[36:37], s[16:17], v[22:23], v[34:35]
	v_mul_f64 v[38:39], v[28:29], s[16:17]
	v_fma_f64 v[34:35], v[22:23], s[16:17], -v[34:35]
	v_add_f64 v[36:37], v[36:37], v[42:43]
	v_fma_f64 v[42:43], s[14:15], v[8:9], v[38:39]
	v_add_f64 v[34:35], v[34:35], v[40:41]
	v_fmac_f64_e32 v[38:39], s[18:19], v[8:9]
	v_mul_f64 v[40:41], v[10:11], s[2:3]
	v_add_f64 v[32:33], v[32:33], v[44:45]
	v_add_f64 v[38:39], v[38:39], v[46:47]
	v_fma_f64 v[44:45], s[8:9], v[22:23], v[40:41]
	v_mul_f64 v[46:47], v[28:29], s[8:9]
	v_fma_f64 v[40:41], v[22:23], s[8:9], -v[40:41]
	v_add_f64 v[44:45], v[44:45], v[50:51]
	;; [unrolled: 10-line block ×4, first 2 shown]
	v_fma_f64 v[66:67], s[36:37], v[8:9], v[62:63]
	v_add_f64 v[56:57], v[56:57], v[64:65]
	v_fmac_f64_e32 v[62:63], s[28:29], v[8:9]
	v_mul_f64 v[64:65], v[10:11], s[52:53]
	v_add_f64 v[62:63], v[62:63], v[76:77]
	v_fma_f64 v[76:77], s[54:55], v[22:23], v[64:65]
	v_add_f64 v[58:59], v[58:59], v[80:81]
	v_add_f64 v[80:81], v[76:77], v[84:85]
	v_mul_f64 v[76:77], v[28:29], s[54:55]
	v_add_f64 v[126:127], v[126:127], v[134:135]
	v_add_f64 v[130:131], v[130:131], v[138:139]
	;; [unrolled: 1-line block ×3, first 2 shown]
	v_fma_f64 v[82:83], s[56:57], v[8:9], v[76:77]
	v_fmac_f64_e32 v[76:77], s[52:53], v[8:9]
	v_add_f64 v[128:129], v[128:129], v[136:137]
	v_add_f64 v[132:133], v[132:133], v[140:141]
	;; [unrolled: 1-line block ×4, first 2 shown]
	v_fma_f64 v[64:65], v[22:23], s[54:55], -v[64:65]
	v_add_f64 v[84:85], v[76:77], v[86:87]
	v_mul_f64 v[76:77], v[10:11], s[24:25]
	v_add_f64 v[120:121], v[120:121], v[128:129]
	v_add_f64 v[124:125], v[124:125], v[132:133]
	;; [unrolled: 1-line block ×5, first 2 shown]
	v_fma_f64 v[78:79], s[22:23], v[22:23], v[76:77]
	v_add_f64 v[114:115], v[114:115], v[120:121]
	v_add_f64 v[116:117], v[116:117], v[124:125]
	;; [unrolled: 1-line block ×5, first 2 shown]
	v_mul_f64 v[78:79], v[28:29], s[22:23]
	v_fma_f64 v[76:77], v[22:23], s[22:23], -v[76:77]
	v_mul_f64 v[10:11], v[10:11], s[26:27]
	v_add_f64 v[106:107], v[106:107], v[114:115]
	v_add_f64 v[108:109], v[108:109], v[116:117]
	;; [unrolled: 1-line block ×5, first 2 shown]
	v_fma_f64 v[90:91], s[20:21], v[8:9], v[78:79]
	v_add_f64 v[88:89], v[76:77], v[88:89]
	v_fmac_f64_e32 v[78:79], s[24:25], v[8:9]
	v_fma_f64 v[76:77], s[34:35], v[22:23], v[10:11]
	v_mul_f64 v[28:29], v[28:29], s[34:35]
	v_add_f64 v[98:99], v[98:99], v[106:107]
	v_add_f64 v[100:101], v[100:101], v[108:109]
	;; [unrolled: 1-line block ×4, first 2 shown]
	v_fma_f64 v[76:77], s[38:39], v[8:9], v[28:29]
	v_add_f64 v[106:107], v[2:3], -v[6:7]
	v_add_f64 v[96:97], v[76:77], v[100:101]
	v_fmac_f64_e32 v[28:29], s[26:27], v[8:9]
	v_add_f64 v[100:101], v[0:1], v[4:5]
	v_add_f64 v[102:103], v[2:3], v[6:7]
	v_add_f64 v[104:105], v[0:1], -v[4:5]
	v_mul_f64 v[4:5], v[106:107], s[52:53]
	v_add_f64 v[90:91], v[90:91], v[98:99]
	v_add_f64 v[98:99], v[28:29], v[16:17]
	v_fma_f64 v[0:1], s[54:55], v[100:101], v[4:5]
	v_mul_f64 v[6:7], v[102:103], s[54:55]
	v_fma_f64 v[4:5], v[100:101], s[54:55], -v[4:5]
	v_mul_f64 v[16:17], v[106:107], s[46:47]
	v_fma_f64 v[2:3], s[56:57], v[104:105], v[6:7]
	v_add_f64 v[76:77], v[4:5], v[12:13]
	v_mul_f64 v[8:9], v[106:107], s[36:37]
	v_fma_f64 v[12:13], s[48:49], v[100:101], v[16:17]
	v_fma_f64 v[16:17], v[100:101], s[48:49], -v[16:17]
	v_fma_f64 v[10:11], v[22:23], s[34:35], -v[10:11]
	v_add_f64 v[2:3], v[2:3], v[32:33]
	v_fma_f64 v[4:5], s[30:31], v[100:101], v[8:9]
	v_fma_f64 v[8:9], v[100:101], s[30:31], -v[8:9]
	v_add_f64 v[16:17], v[16:17], v[40:41]
	v_mul_f64 v[32:33], v[106:107], s[24:25]
	v_mul_f64 v[40:41], v[106:107], s[40:41]
	v_add_f64 v[22:23], v[10:11], v[18:19]
	v_fmac_f64_e32 v[6:7], s[52:53], v[104:105]
	v_add_f64 v[4:5], v[4:5], v[36:37]
	v_add_f64 v[8:9], v[8:9], v[34:35]
	v_mul_f64 v[18:19], v[102:103], s[48:49]
	v_fma_f64 v[28:29], s[22:23], v[100:101], v[32:33]
	v_mul_f64 v[34:35], v[102:103], s[22:23]
	v_fma_f64 v[32:33], v[100:101], s[22:23], -v[32:33]
	v_fma_f64 v[36:37], s[42:43], v[100:101], v[40:41]
	v_fma_f64 v[40:41], v[100:101], s[42:43], -v[40:41]
	v_add_f64 v[0:1], v[0:1], v[14:15]
	v_add_f64 v[78:79], v[6:7], v[30:31]
	v_fma_f64 v[14:15], s[50:51], v[104:105], v[18:19]
	v_fma_f64 v[30:31], s[20:21], v[104:105], v[34:35]
	v_add_f64 v[32:33], v[32:33], v[48:49]
	v_add_f64 v[40:41], v[40:41], v[56:57]
	v_mul_f64 v[48:49], v[106:107], s[18:19]
	v_mul_f64 v[56:57], v[106:107], s[26:27]
	v_add_f64 v[12:13], v[12:13], v[44:45]
	v_add_f64 v[14:15], v[14:15], v[50:51]
	v_fmac_f64_e32 v[18:19], s[46:47], v[104:105]
	v_add_f64 v[28:29], v[28:29], v[52:53]
	v_add_f64 v[30:31], v[30:31], v[58:59]
	v_fmac_f64_e32 v[34:35], s[24:25], v[104:105]
	v_fma_f64 v[44:45], s[16:17], v[100:101], v[48:49]
	v_mul_f64 v[50:51], v[102:103], s[16:17]
	v_fma_f64 v[52:53], s[34:35], v[100:101], v[56:57]
	v_mul_f64 v[58:59], v[102:103], s[34:35]
	v_fma_f64 v[56:57], v[100:101], s[34:35], -v[56:57]
	v_add_f64 v[18:19], v[18:19], v[46:47]
	v_add_f64 v[34:35], v[34:35], v[54:55]
	;; [unrolled: 1-line block ×3, first 2 shown]
	v_fma_f64 v[46:47], s[14:15], v[104:105], v[50:51]
	v_fma_f64 v[54:55], s[38:39], v[104:105], v[58:59]
	v_add_f64 v[80:81], v[56:57], v[88:89]
	v_fmac_f64_e32 v[58:59], s[26:27], v[104:105]
	v_mul_f64 v[56:57], v[106:107], s[10:11]
	v_mul_f64 v[10:11], v[102:103], s[30:31]
	v_add_f64 v[46:47], v[46:47], v[82:83]
	v_fmac_f64_e32 v[50:51], s[18:19], v[104:105]
	v_add_f64 v[82:83], v[58:59], v[92:93]
	v_fma_f64 v[58:59], s[8:9], v[100:101], v[56:57]
	v_fma_f64 v[6:7], s[28:29], v[104:105], v[10:11]
	v_add_f64 v[50:51], v[50:51], v[84:85]
	v_add_f64 v[84:85], v[58:59], v[94:95]
	v_mul_f64 v[58:59], v[102:103], s[8:9]
	v_add_f64 v[6:7], v[6:7], v[42:43]
	v_fmac_f64_e32 v[10:11], s[36:37], v[104:105]
	v_add_f64 v[36:37], v[36:37], v[60:61]
	v_mul_f64 v[42:43], v[102:103], s[42:43]
	v_fma_f64 v[60:61], s[2:3], v[104:105], v[58:59]
	v_fma_f64 v[56:57], v[100:101], s[8:9], -v[56:57]
	v_fmac_f64_e32 v[58:59], s[10:11], v[104:105]
	v_add_f64 v[10:11], v[10:11], v[38:39]
	v_fma_f64 v[38:39], s[44:45], v[104:105], v[42:43]
	v_fmac_f64_e32 v[42:43], s[40:41], v[104:105]
	v_fma_f64 v[48:49], v[100:101], s[16:17], -v[48:49]
	v_add_f64 v[52:53], v[52:53], v[86:87]
	v_add_f64 v[54:55], v[54:55], v[90:91]
	;; [unrolled: 1-line block ×8, first 2 shown]
	s_barrier
	ds_write_b128 v27, v[72:75]
	ds_write_b128 v27, v[0:3] offset:544
	ds_write_b128 v27, v[4:7] offset:1088
	;; [unrolled: 1-line block ×16, first 2 shown]
	s_waitcnt lgkmcnt(0)
	s_barrier
	ds_read_b128 v[92:95], v21
	ds_read_b128 v[88:91], v21 offset:1088
	ds_read_b128 v[12:15], v21 offset:9248
	;; [unrolled: 1-line block ×15, first 2 shown]
	v_add_u32_e32 v17, 0x1980, v21
	v_add_u32_e32 v16, 0x1dc0, v21
	s_and_saveexec_b64 s[2:3], s[0:1]
	s_cbranch_execz .LBB0_15
; %bb.14:
	ds_read_b128 v[76:79], v21 offset:8704
	ds_read_b128 v[68:71], v21 offset:17952
.LBB0_15:
	s_or_b64 exec, exec, s[2:3]
	s_waitcnt lgkmcnt(13)
	v_mul_f64 v[18:19], v[174:175], v[14:15]
	v_fmac_f64_e32 v[18:19], v[172:173], v[12:13]
	v_mul_f64 v[12:13], v[174:175], v[12:13]
	v_fma_f64 v[14:15], v[172:173], v[14:15], -v[12:13]
	s_waitcnt lgkmcnt(12)
	v_mul_f64 v[12:13], v[178:179], v[120:121]
	v_fma_f64 v[32:33], v[176:177], v[122:123], -v[12:13]
	s_waitcnt lgkmcnt(9)
	v_mul_f64 v[12:13], v[182:183], v[116:117]
	v_fma_f64 v[40:41], v[180:181], v[118:119], -v[12:13]
	s_waitcnt lgkmcnt(8)
	v_mul_f64 v[12:13], v[186:187], v[112:113]
	v_fma_f64 v[48:49], v[184:185], v[114:115], -v[12:13]
	s_waitcnt lgkmcnt(5)
	v_mul_f64 v[12:13], v[190:191], v[108:109]
	v_fma_f64 v[56:57], v[188:189], v[110:111], -v[12:13]
	s_waitcnt lgkmcnt(4)
	v_mul_f64 v[12:13], v[194:195], v[104:105]
	v_mul_f64 v[22:23], v[178:179], v[122:123]
	;; [unrolled: 1-line block ×4, first 2 shown]
	v_fma_f64 v[60:61], v[192:193], v[106:107], -v[12:13]
	s_waitcnt lgkmcnt(1)
	v_mul_f64 v[12:13], v[198:199], v[100:101]
	v_fmac_f64_e32 v[22:23], v[176:177], v[120:121]
	v_fmac_f64_e32 v[38:39], v[180:181], v[116:117]
	;; [unrolled: 1-line block ×3, first 2 shown]
	v_mul_f64 v[54:55], v[190:191], v[110:111]
	v_mul_f64 v[58:59], v[194:195], v[106:107]
	;; [unrolled: 1-line block ×3, first 2 shown]
	v_fma_f64 v[64:65], v[196:197], v[102:103], -v[12:13]
	s_waitcnt lgkmcnt(0)
	v_mul_f64 v[66:67], v[202:203], v[98:99]
	v_mul_f64 v[12:13], v[202:203], v[96:97]
	v_fmac_f64_e32 v[54:55], v[188:189], v[108:109]
	v_fmac_f64_e32 v[58:59], v[192:193], v[104:105]
	v_fmac_f64_e32 v[62:63], v[196:197], v[100:101]
	v_fmac_f64_e32 v[66:67], v[200:201], v[96:97]
	v_fma_f64 v[96:97], v[200:201], v[98:99], -v[12:13]
	v_add_f64 v[12:13], v[92:93], -v[18:19]
	v_add_f64 v[14:15], v[94:95], -v[14:15]
	;; [unrolled: 1-line block ×8, first 2 shown]
	v_fma_f64 v[26:27], v[92:93], 2.0, -v[12:13]
	v_fma_f64 v[28:29], v[94:95], 2.0, -v[14:15]
	v_fma_f64 v[34:35], v[88:89], 2.0, -v[30:31]
	v_fma_f64 v[36:37], v[90:91], 2.0, -v[32:33]
	v_fma_f64 v[42:43], v[84:85], 2.0, -v[38:39]
	v_fma_f64 v[44:45], v[86:87], 2.0, -v[40:41]
	v_fma_f64 v[50:51], v[80:81], 2.0, -v[46:47]
	v_fma_f64 v[52:53], v[82:83], 2.0, -v[48:49]
	v_add_f64 v[80:81], v[72:73], -v[54:55]
	v_add_f64 v[82:83], v[74:75], -v[56:57]
	v_add_f64 v[84:85], v[8:9], -v[58:59]
	v_add_f64 v[86:87], v[10:11], -v[60:61]
	v_add_f64 v[88:89], v[4:5], -v[62:63]
	v_add_f64 v[90:91], v[6:7], -v[64:65]
	v_add_f64 v[92:93], v[0:1], -v[66:67]
	v_add_f64 v[94:95], v[2:3], -v[96:97]
	v_fma_f64 v[72:73], v[72:73], 2.0, -v[80:81]
	v_fma_f64 v[74:75], v[74:75], 2.0, -v[82:83]
	;; [unrolled: 1-line block ×8, first 2 shown]
	ds_write_b128 v21, v[26:29]
	ds_write_b128 v25, v[12:15] offset:9248
	ds_write_b128 v21, v[34:37] offset:1088
	;; [unrolled: 1-line block ×15, first 2 shown]
	s_and_saveexec_b64 s[2:3], s[0:1]
	s_cbranch_execz .LBB0_17
; %bb.16:
	v_accvgpr_read_b32 v8, a98
	v_accvgpr_read_b32 v10, a100
	v_accvgpr_read_b32 v11, a101
	v_accvgpr_read_b32 v9, a99
	v_mul_f64 v[0:1], v[10:11], v[68:69]
	v_fma_f64 v[0:1], v[8:9], v[70:71], -v[0:1]
	v_add_f64 v[2:3], v[78:79], -v[0:1]
	v_mul_f64 v[0:1], v[10:11], v[70:71]
	v_fmac_f64_e32 v[0:1], v[8:9], v[68:69]
	v_add_f64 v[0:1], v[76:77], -v[0:1]
	v_fma_f64 v[6:7], v[78:79], 2.0, -v[2:3]
	v_fma_f64 v[4:5], v[76:77], 2.0, -v[0:1]
	ds_write_b128 v21, v[4:7] offset:8704
	ds_write_b128 v25, v[0:3] offset:17952
.LBB0_17:
	s_or_b64 exec, exec, s[2:3]
	s_waitcnt lgkmcnt(0)
	s_barrier
	ds_read_b128 v[0:3], v21
	v_accvgpr_read_b32 v6, a0
	v_mad_u64_u32 v[12:13], s[0:1], s6, v6, 0
	v_mov_b32_e32 v4, v13
	v_accvgpr_read_b32 v17, a5
	v_mad_u64_u32 v[4:5], s[0:1], s7, v6, v[4:5]
	v_accvgpr_read_b32 v16, a4
	v_mov_b32_e32 v13, v4
	ds_read_b128 v[4:7], v21 offset:1088
	v_accvgpr_read_b32 v15, a3
	v_accvgpr_read_b32 v14, a2
	s_waitcnt lgkmcnt(1)
	v_mul_f64 v[8:9], v[16:17], v[2:3]
	v_fmac_f64_e32 v[8:9], v[14:15], v[0:1]
	s_mov_b32 s0, 0xd10d4986
	v_mul_f64 v[0:1], v[16:17], v[0:1]
	s_mov_b32 s1, 0x3f4c5894
	v_fma_f64 v[0:1], v[14:15], v[2:3], -v[0:1]
	v_mul_f64 v[10:11], v[0:1], s[0:1]
	v_mad_u64_u32 v[0:1], s[2:3], s4, v20, 0
	v_mov_b32_e32 v2, v1
	v_mad_u64_u32 v[2:3], s[2:3], s5, v20, v[2:3]
	v_mov_b32_e32 v1, v2
	v_lshlrev_b64 v[2:3], 4, v[12:13]
	v_mov_b32_e32 v12, s13
	v_add_co_u32_e32 v2, vcc, s12, v2
	v_addc_co_u32_e32 v3, vcc, v12, v3, vcc
	v_lshlrev_b64 v[0:1], 4, v[0:1]
	v_add_co_u32_e32 v12, vcc, v2, v0
	v_mul_f64 v[8:9], v[8:9], s[0:1]
	v_addc_co_u32_e32 v13, vcc, v3, v1, vcc
	global_store_dwordx4 v[12:13], v[8:11], off
	v_mov_b32_e32 v14, 0x440
	v_accvgpr_read_b32 v8, a66
	v_accvgpr_read_b32 v10, a68
	;; [unrolled: 1-line block ×4, first 2 shown]
	s_waitcnt lgkmcnt(0)
	v_mul_f64 v[0:1], v[10:11], v[6:7]
	v_mul_f64 v[2:3], v[10:11], v[4:5]
	v_fmac_f64_e32 v[0:1], v[8:9], v[4:5]
	v_fma_f64 v[2:3], v[8:9], v[6:7], -v[2:3]
	ds_read_b128 v[4:7], v21 offset:2176
	v_mad_u64_u32 v[12:13], s[2:3], s4, v14, v[12:13]
	s_mul_i32 s2, s5, 0x440
	v_accvgpr_read_b32 v16, a62
	v_mul_f64 v[0:1], v[0:1], s[0:1]
	v_mul_f64 v[2:3], v[2:3], s[0:1]
	v_add_u32_e32 v13, s2, v13
	v_accvgpr_read_b32 v18, a64
	v_accvgpr_read_b32 v19, a65
	global_store_dwordx4 v[12:13], v[0:3], off
	ds_read_b128 v[0:3], v21 offset:3264
	v_accvgpr_read_b32 v17, a63
	s_waitcnt lgkmcnt(1)
	v_mul_f64 v[8:9], v[18:19], v[6:7]
	v_fmac_f64_e32 v[8:9], v[16:17], v[4:5]
	v_mul_f64 v[4:5], v[18:19], v[4:5]
	v_fma_f64 v[4:5], v[16:17], v[6:7], -v[4:5]
	v_mad_u64_u32 v[12:13], s[6:7], s4, v14, v[12:13]
	v_mul_f64 v[8:9], v[8:9], s[0:1]
	v_mul_f64 v[10:11], v[4:5], s[0:1]
	v_add_u32_e32 v13, s2, v13
	global_store_dwordx4 v[12:13], v[8:11], off
	v_accvgpr_read_b32 v6, a58
	v_accvgpr_read_b32 v8, a60
	v_accvgpr_read_b32 v9, a61
	v_accvgpr_read_b32 v7, a59
	s_waitcnt lgkmcnt(0)
	v_mul_f64 v[4:5], v[8:9], v[2:3]
	v_fmac_f64_e32 v[4:5], v[6:7], v[0:1]
	v_mul_f64 v[0:1], v[8:9], v[0:1]
	v_fma_f64 v[0:1], v[6:7], v[2:3], -v[0:1]
	v_mul_f64 v[6:7], v[0:1], s[0:1]
	ds_read_b128 v[0:3], v21 offset:4352
	v_mad_u64_u32 v[12:13], s[6:7], s4, v14, v[12:13]
	v_accvgpr_read_b32 v16, a54
	v_mul_f64 v[4:5], v[4:5], s[0:1]
	v_add_u32_e32 v13, s2, v13
	v_accvgpr_read_b32 v18, a56
	v_accvgpr_read_b32 v19, a57
	global_store_dwordx4 v[12:13], v[4:7], off
	ds_read_b128 v[4:7], v21 offset:5440
	v_accvgpr_read_b32 v17, a55
	s_waitcnt lgkmcnt(1)
	v_mul_f64 v[8:9], v[18:19], v[2:3]
	v_fmac_f64_e32 v[8:9], v[16:17], v[0:1]
	v_mul_f64 v[0:1], v[18:19], v[0:1]
	v_fma_f64 v[0:1], v[16:17], v[2:3], -v[0:1]
	v_mad_u64_u32 v[12:13], s[6:7], s4, v14, v[12:13]
	v_mul_f64 v[8:9], v[8:9], s[0:1]
	v_mul_f64 v[10:11], v[0:1], s[0:1]
	v_add_u32_e32 v13, s2, v13
	global_store_dwordx4 v[12:13], v[8:11], off
	v_mad_u64_u32 v[12:13], s[6:7], s4, v14, v[12:13]
	v_accvgpr_read_b32 v8, a50
	v_accvgpr_read_b32 v10, a52
	v_accvgpr_read_b32 v11, a53
	v_accvgpr_read_b32 v9, a51
	s_waitcnt lgkmcnt(0)
	v_mul_f64 v[0:1], v[10:11], v[6:7]
	v_mul_f64 v[2:3], v[10:11], v[4:5]
	v_fmac_f64_e32 v[0:1], v[8:9], v[4:5]
	v_fma_f64 v[2:3], v[8:9], v[6:7], -v[2:3]
	ds_read_b128 v[4:7], v21 offset:6528
	v_accvgpr_read_b32 v16, a30
	v_mul_f64 v[0:1], v[0:1], s[0:1]
	v_mul_f64 v[2:3], v[2:3], s[0:1]
	v_add_u32_e32 v13, s2, v13
	v_accvgpr_read_b32 v18, a32
	v_accvgpr_read_b32 v19, a33
	global_store_dwordx4 v[12:13], v[0:3], off
	ds_read_b128 v[0:3], v21 offset:7616
	v_accvgpr_read_b32 v17, a31
	s_waitcnt lgkmcnt(1)
	v_mul_f64 v[8:9], v[18:19], v[6:7]
	v_fmac_f64_e32 v[8:9], v[16:17], v[4:5]
	v_mul_f64 v[4:5], v[18:19], v[4:5]
	v_fma_f64 v[4:5], v[16:17], v[6:7], -v[4:5]
	v_mad_u64_u32 v[12:13], s[6:7], s4, v14, v[12:13]
	v_mul_f64 v[8:9], v[8:9], s[0:1]
	v_mul_f64 v[10:11], v[4:5], s[0:1]
	v_add_u32_e32 v13, s2, v13
	global_store_dwordx4 v[12:13], v[8:11], off
	v_accvgpr_read_b32 v6, a6
	v_accvgpr_read_b32 v8, a8
	v_accvgpr_read_b32 v9, a9
	v_accvgpr_read_b32 v7, a7
	s_waitcnt lgkmcnt(0)
	v_mul_f64 v[4:5], v[8:9], v[2:3]
	v_fmac_f64_e32 v[4:5], v[6:7], v[0:1]
	v_mul_f64 v[0:1], v[8:9], v[0:1]
	v_fma_f64 v[0:1], v[6:7], v[2:3], -v[0:1]
	v_mul_f64 v[6:7], v[0:1], s[0:1]
	ds_read_b128 v[0:3], v21 offset:8704
	v_mad_u64_u32 v[12:13], s[6:7], s4, v14, v[12:13]
	v_accvgpr_read_b32 v16, a38
	v_mul_f64 v[4:5], v[4:5], s[0:1]
	v_add_u32_e32 v13, s2, v13
	v_accvgpr_read_b32 v18, a40
	v_accvgpr_read_b32 v19, a41
	global_store_dwordx4 v[12:13], v[4:7], off
	ds_read_b128 v[4:7], v21 offset:9792
	v_accvgpr_read_b32 v17, a39
	s_waitcnt lgkmcnt(1)
	v_mul_f64 v[8:9], v[18:19], v[2:3]
	v_fmac_f64_e32 v[8:9], v[16:17], v[0:1]
	v_mul_f64 v[0:1], v[18:19], v[0:1]
	v_fma_f64 v[0:1], v[16:17], v[2:3], -v[0:1]
	v_mad_u64_u32 v[12:13], s[6:7], s4, v14, v[12:13]
	v_mul_f64 v[8:9], v[8:9], s[0:1]
	v_mul_f64 v[10:11], v[0:1], s[0:1]
	v_add_u32_e32 v13, s2, v13
	global_store_dwordx4 v[12:13], v[8:11], off
	v_mad_u64_u32 v[12:13], s[6:7], s4, v14, v[12:13]
	v_accvgpr_read_b32 v8, a14
	v_accvgpr_read_b32 v10, a16
	v_accvgpr_read_b32 v11, a17
	v_accvgpr_read_b32 v9, a15
	s_waitcnt lgkmcnt(0)
	v_mul_f64 v[0:1], v[10:11], v[6:7]
	v_mul_f64 v[2:3], v[10:11], v[4:5]
	v_fmac_f64_e32 v[0:1], v[8:9], v[4:5]
	v_fma_f64 v[2:3], v[8:9], v[6:7], -v[2:3]
	ds_read_b128 v[4:7], v21 offset:10880
	;; [unrolled: 60-line block ×3, first 2 shown]
	v_accvgpr_read_b32 v16, a42
	v_mul_f64 v[0:1], v[0:1], s[0:1]
	v_mul_f64 v[2:3], v[2:3], s[0:1]
	v_add_u32_e32 v13, s2, v13
	v_accvgpr_read_b32 v18, a44
	v_accvgpr_read_b32 v19, a45
	global_store_dwordx4 v[12:13], v[0:3], off
	ds_read_b128 v[0:3], v21 offset:16320
	v_accvgpr_read_b32 v17, a43
	s_waitcnt lgkmcnt(1)
	v_mul_f64 v[8:9], v[18:19], v[6:7]
	v_fmac_f64_e32 v[8:9], v[16:17], v[4:5]
	v_mul_f64 v[4:5], v[18:19], v[4:5]
	v_fma_f64 v[4:5], v[16:17], v[6:7], -v[4:5]
	v_mad_u64_u32 v[12:13], s[6:7], s4, v14, v[12:13]
	v_mul_f64 v[8:9], v[8:9], s[0:1]
	v_mul_f64 v[10:11], v[4:5], s[0:1]
	v_add_u32_e32 v13, s2, v13
	global_store_dwordx4 v[12:13], v[8:11], off
	v_accvgpr_read_b32 v6, a18
	v_accvgpr_read_b32 v8, a20
	;; [unrolled: 1-line block ×4, first 2 shown]
	s_waitcnt lgkmcnt(0)
	v_mul_f64 v[4:5], v[8:9], v[2:3]
	v_fmac_f64_e32 v[4:5], v[6:7], v[0:1]
	v_mul_f64 v[0:1], v[8:9], v[0:1]
	v_fma_f64 v[0:1], v[6:7], v[2:3], -v[0:1]
	v_mul_f64 v[6:7], v[0:1], s[0:1]
	ds_read_b128 v[0:3], v21 offset:17408
	v_mad_u64_u32 v[8:9], s[6:7], s4, v14, v[12:13]
	v_accvgpr_read_b32 v10, a26
	v_mul_f64 v[4:5], v[4:5], s[0:1]
	v_add_u32_e32 v9, s2, v9
	v_accvgpr_read_b32 v12, a28
	v_accvgpr_read_b32 v13, a29
	global_store_dwordx4 v[8:9], v[4:7], off
	v_accvgpr_read_b32 v11, a27
	s_waitcnt lgkmcnt(0)
	v_mul_f64 v[4:5], v[12:13], v[2:3]
	v_fmac_f64_e32 v[4:5], v[10:11], v[0:1]
	v_mul_f64 v[0:1], v[12:13], v[0:1]
	v_fma_f64 v[0:1], v[10:11], v[2:3], -v[0:1]
	v_mul_f64 v[4:5], v[4:5], s[0:1]
	v_mul_f64 v[6:7], v[0:1], s[0:1]
	v_mad_u64_u32 v[0:1], s[0:1], s4, v14, v[8:9]
	v_add_u32_e32 v1, s2, v1
	global_store_dwordx4 v[0:1], v[4:7], off
.LBB0_18:
	s_endpgm
	.section	.rodata,"a",@progbits
	.p2align	6, 0x0
	.amdhsa_kernel bluestein_single_fwd_len1156_dim1_dp_op_CI_CI
		.amdhsa_group_segment_fixed_size 55488
		.amdhsa_private_segment_fixed_size 0
		.amdhsa_kernarg_size 104
		.amdhsa_user_sgpr_count 6
		.amdhsa_user_sgpr_private_segment_buffer 1
		.amdhsa_user_sgpr_dispatch_ptr 0
		.amdhsa_user_sgpr_queue_ptr 0
		.amdhsa_user_sgpr_kernarg_segment_ptr 1
		.amdhsa_user_sgpr_dispatch_id 0
		.amdhsa_user_sgpr_flat_scratch_init 0
		.amdhsa_user_sgpr_kernarg_preload_length 0
		.amdhsa_user_sgpr_kernarg_preload_offset 0
		.amdhsa_user_sgpr_private_segment_size 0
		.amdhsa_uses_dynamic_stack 0
		.amdhsa_system_sgpr_private_segment_wavefront_offset 0
		.amdhsa_system_sgpr_workgroup_id_x 1
		.amdhsa_system_sgpr_workgroup_id_y 0
		.amdhsa_system_sgpr_workgroup_id_z 0
		.amdhsa_system_sgpr_workgroup_info 0
		.amdhsa_system_vgpr_workitem_id 0
		.amdhsa_next_free_vgpr 358
		.amdhsa_next_free_sgpr 60
		.amdhsa_accum_offset 256
		.amdhsa_reserve_vcc 1
		.amdhsa_reserve_flat_scratch 0
		.amdhsa_float_round_mode_32 0
		.amdhsa_float_round_mode_16_64 0
		.amdhsa_float_denorm_mode_32 3
		.amdhsa_float_denorm_mode_16_64 3
		.amdhsa_dx10_clamp 1
		.amdhsa_ieee_mode 1
		.amdhsa_fp16_overflow 0
		.amdhsa_tg_split 0
		.amdhsa_exception_fp_ieee_invalid_op 0
		.amdhsa_exception_fp_denorm_src 0
		.amdhsa_exception_fp_ieee_div_zero 0
		.amdhsa_exception_fp_ieee_overflow 0
		.amdhsa_exception_fp_ieee_underflow 0
		.amdhsa_exception_fp_ieee_inexact 0
		.amdhsa_exception_int_div_zero 0
	.end_amdhsa_kernel
	.text
.Lfunc_end0:
	.size	bluestein_single_fwd_len1156_dim1_dp_op_CI_CI, .Lfunc_end0-bluestein_single_fwd_len1156_dim1_dp_op_CI_CI
                                        ; -- End function
	.section	.AMDGPU.csdata,"",@progbits
; Kernel info:
; codeLenInByte = 34960
; NumSgprs: 64
; NumVgprs: 256
; NumAgprs: 102
; TotalNumVgprs: 358
; ScratchSize: 0
; MemoryBound: 0
; FloatMode: 240
; IeeeMode: 1
; LDSByteSize: 55488 bytes/workgroup (compile time only)
; SGPRBlocks: 7
; VGPRBlocks: 44
; NumSGPRsForWavesPerEU: 64
; NumVGPRsForWavesPerEU: 358
; AccumOffset: 256
; Occupancy: 1
; WaveLimiterHint : 1
; COMPUTE_PGM_RSRC2:SCRATCH_EN: 0
; COMPUTE_PGM_RSRC2:USER_SGPR: 6
; COMPUTE_PGM_RSRC2:TRAP_HANDLER: 0
; COMPUTE_PGM_RSRC2:TGID_X_EN: 1
; COMPUTE_PGM_RSRC2:TGID_Y_EN: 0
; COMPUTE_PGM_RSRC2:TGID_Z_EN: 0
; COMPUTE_PGM_RSRC2:TIDIG_COMP_CNT: 0
; COMPUTE_PGM_RSRC3_GFX90A:ACCUM_OFFSET: 63
; COMPUTE_PGM_RSRC3_GFX90A:TG_SPLIT: 0
	.text
	.p2alignl 6, 3212836864
	.fill 256, 4, 3212836864
	.type	__hip_cuid_b86394fa9defd4b5,@object ; @__hip_cuid_b86394fa9defd4b5
	.section	.bss,"aw",@nobits
	.globl	__hip_cuid_b86394fa9defd4b5
__hip_cuid_b86394fa9defd4b5:
	.byte	0                               ; 0x0
	.size	__hip_cuid_b86394fa9defd4b5, 1

	.ident	"AMD clang version 19.0.0git (https://github.com/RadeonOpenCompute/llvm-project roc-6.4.0 25133 c7fe45cf4b819c5991fe208aaa96edf142730f1d)"
	.section	".note.GNU-stack","",@progbits
	.addrsig
	.addrsig_sym __hip_cuid_b86394fa9defd4b5
	.amdgpu_metadata
---
amdhsa.kernels:
  - .agpr_count:     102
    .args:
      - .actual_access:  read_only
        .address_space:  global
        .offset:         0
        .size:           8
        .value_kind:     global_buffer
      - .actual_access:  read_only
        .address_space:  global
        .offset:         8
        .size:           8
        .value_kind:     global_buffer
      - .actual_access:  read_only
        .address_space:  global
        .offset:         16
        .size:           8
        .value_kind:     global_buffer
      - .actual_access:  read_only
        .address_space:  global
        .offset:         24
        .size:           8
        .value_kind:     global_buffer
      - .actual_access:  read_only
        .address_space:  global
        .offset:         32
        .size:           8
        .value_kind:     global_buffer
      - .offset:         40
        .size:           8
        .value_kind:     by_value
      - .address_space:  global
        .offset:         48
        .size:           8
        .value_kind:     global_buffer
      - .address_space:  global
        .offset:         56
        .size:           8
        .value_kind:     global_buffer
      - .address_space:  global
        .offset:         64
        .size:           8
        .value_kind:     global_buffer
      - .address_space:  global
        .offset:         72
        .size:           8
        .value_kind:     global_buffer
      - .offset:         80
        .size:           4
        .value_kind:     by_value
      - .address_space:  global
        .offset:         88
        .size:           8
        .value_kind:     global_buffer
      - .address_space:  global
        .offset:         96
        .size:           8
        .value_kind:     global_buffer
    .group_segment_fixed_size: 55488
    .kernarg_segment_align: 8
    .kernarg_segment_size: 104
    .language:       OpenCL C
    .language_version:
      - 2
      - 0
    .max_flat_workgroup_size: 204
    .name:           bluestein_single_fwd_len1156_dim1_dp_op_CI_CI
    .private_segment_fixed_size: 0
    .sgpr_count:     64
    .sgpr_spill_count: 0
    .symbol:         bluestein_single_fwd_len1156_dim1_dp_op_CI_CI.kd
    .uniform_work_group_size: 1
    .uses_dynamic_stack: false
    .vgpr_count:     358
    .vgpr_spill_count: 0
    .wavefront_size: 64
amdhsa.target:   amdgcn-amd-amdhsa--gfx90a
amdhsa.version:
  - 1
  - 2
...

	.end_amdgpu_metadata
